;; amdgpu-corpus repo=ROCm/rocFFT kind=compiled arch=gfx1201 opt=O3
	.text
	.amdgcn_target "amdgcn-amd-amdhsa--gfx1201"
	.amdhsa_code_object_version 6
	.protected	bluestein_single_back_len561_dim1_sp_op_CI_CI ; -- Begin function bluestein_single_back_len561_dim1_sp_op_CI_CI
	.globl	bluestein_single_back_len561_dim1_sp_op_CI_CI
	.p2align	8
	.type	bluestein_single_back_len561_dim1_sp_op_CI_CI,@function
bluestein_single_back_len561_dim1_sp_op_CI_CI: ; @bluestein_single_back_len561_dim1_sp_op_CI_CI
; %bb.0:
	s_load_b128 s[8:11], s[0:1], 0x28
	v_mul_u32_u24_e32 v1, 0x506, v0
	s_mov_b32 s2, exec_lo
	s_delay_alu instid0(VALU_DEP_1) | instskip(NEXT) | instid1(VALU_DEP_1)
	v_lshrrev_b32_e32 v1, 16, v1
	v_mad_co_u64_u32 v[68:69], null, ttmp9, 5, v[1:2]
	v_mov_b32_e32 v69, 0
                                        ; kill: def $vgpr2 killed $sgpr0 killed $exec
	s_wait_kmcnt 0x0
	s_delay_alu instid0(VALU_DEP_1)
	v_cmpx_gt_u64_e64 s[8:9], v[68:69]
	s_cbranch_execz .LBB0_23
; %bb.1:
	v_mul_hi_u32 v2, 0xcccccccd, v68
	s_clause 0x1
	s_load_b64 s[8:9], s[0:1], 0x0
	s_load_b64 s[12:13], s[0:1], 0x38
	v_mul_lo_u16 v1, v1, 51
	s_delay_alu instid0(VALU_DEP_1) | instskip(NEXT) | instid1(VALU_DEP_3)
	v_sub_nc_u16 v0, v0, v1
	v_lshrrev_b32_e32 v2, 2, v2
	s_delay_alu instid0(VALU_DEP_2) | instskip(NEXT) | instid1(VALU_DEP_2)
	v_and_b32_e32 v90, 0xffff, v0
	v_lshl_add_u32 v2, v2, 2, v2
	v_cmp_gt_u16_e32 vcc_lo, 33, v0
	s_delay_alu instid0(VALU_DEP_3) | instskip(NEXT) | instid1(VALU_DEP_3)
	v_lshlrev_b32_e32 v89, 3, v90
	v_sub_nc_u32_e32 v1, v68, v2
	s_delay_alu instid0(VALU_DEP_1) | instskip(NEXT) | instid1(VALU_DEP_1)
	v_mul_u32_u24_e32 v44, 0x231, v1
	v_lshlrev_b32_e32 v91, 3, v44
	s_and_saveexec_b32 s3, vcc_lo
	s_cbranch_execz .LBB0_3
; %bb.2:
	s_load_b64 s[4:5], s[0:1], 0x18
	s_delay_alu instid0(VALU_DEP_1) | instskip(SKIP_1) | instid1(VALU_DEP_2)
	v_add_nc_u32_e32 v67, v91, v89
	v_lshl_add_u32 v73, v90, 3, v91
	v_add_nc_u32_e32 v74, 0x400, v67
	s_wait_kmcnt 0x0
	s_load_b128 s[4:7], s[4:5], 0x0
	s_wait_kmcnt 0x0
	v_mad_co_u64_u32 v[0:1], null, s6, v68, 0
	v_mad_co_u64_u32 v[2:3], null, s4, v90, 0
	s_delay_alu instid0(VALU_DEP_1) | instskip(NEXT) | instid1(VALU_DEP_1)
	v_mad_co_u64_u32 v[4:5], null, s7, v68, v[1:2]
	v_mad_co_u64_u32 v[5:6], null, s5, v90, v[3:4]
	v_mov_b32_e32 v1, v4
	s_mul_u64 s[4:5], s[4:5], 0x108
	s_delay_alu instid0(VALU_DEP_1) | instskip(NEXT) | instid1(VALU_DEP_3)
	v_lshlrev_b64_e32 v[0:1], 3, v[0:1]
	v_mov_b32_e32 v3, v5
	s_clause 0x3
	global_load_b64 v[4:5], v89, s[8:9]
	global_load_b64 v[6:7], v89, s[8:9] offset:264
	global_load_b64 v[8:9], v89, s[8:9] offset:528
	global_load_b64 v[10:11], v89, s[8:9] offset:792
	v_add_co_u32 v18, s2, s10, v0
	v_lshlrev_b64_e32 v[2:3], 3, v[2:3]
	v_add_co_ci_u32_e64 v19, s2, s11, v1, s2
	s_clause 0xa
	global_load_b64 v[0:1], v89, s[8:9] offset:1056
	global_load_b64 v[12:13], v89, s[8:9] offset:1320
	;; [unrolled: 1-line block ×11, first 2 shown]
	v_add_co_u32 v2, s2, v18, v2
	s_wait_alu 0xf1ff
	v_add_co_ci_u32_e64 v3, s2, v19, v3, s2
	s_wait_alu 0xfffe
	s_delay_alu instid0(VALU_DEP_2) | instskip(SKIP_1) | instid1(VALU_DEP_2)
	v_add_co_u32 v18, s2, v2, s4
	s_wait_alu 0xf1ff
	v_add_co_ci_u32_e64 v19, s2, s5, v3, s2
	global_load_b64 v[2:3], v[2:3], off
	v_add_co_u32 v28, s2, v18, s4
	s_wait_alu 0xf1ff
	v_add_co_ci_u32_e64 v29, s2, s5, v19, s2
	s_delay_alu instid0(VALU_DEP_2) | instskip(SKIP_1) | instid1(VALU_DEP_2)
	v_add_co_u32 v36, s2, v28, s4
	s_wait_alu 0xf1ff
	v_add_co_ci_u32_e64 v37, s2, s5, v29, s2
	s_delay_alu instid0(VALU_DEP_2) | instskip(SKIP_1) | instid1(VALU_DEP_2)
	v_add_co_u32 v38, s2, v36, s4
	s_wait_alu 0xf1ff
	v_add_co_ci_u32_e64 v39, s2, s5, v37, s2
	s_clause 0x2
	global_load_b64 v[18:19], v[18:19], off
	global_load_b64 v[28:29], v[28:29], off
	;; [unrolled: 1-line block ×3, first 2 shown]
	v_add_co_u32 v40, s2, v38, s4
	s_wait_alu 0xf1ff
	v_add_co_ci_u32_e64 v41, s2, s5, v39, s2
	global_load_b64 v[38:39], v[38:39], off
	v_add_co_u32 v42, s2, v40, s4
	s_wait_alu 0xf1ff
	v_add_co_ci_u32_e64 v43, s2, s5, v41, s2
	global_load_b64 v[40:41], v[40:41], off
	v_add_co_u32 v45, s2, v42, s4
	s_wait_alu 0xf1ff
	v_add_co_ci_u32_e64 v46, s2, s5, v43, s2
	global_load_b64 v[42:43], v[42:43], off
	v_add_co_u32 v47, s2, v45, s4
	s_wait_alu 0xf1ff
	v_add_co_ci_u32_e64 v48, s2, s5, v46, s2
	global_load_b64 v[45:46], v[45:46], off
	v_add_co_u32 v49, s2, v47, s4
	s_wait_alu 0xf1ff
	v_add_co_ci_u32_e64 v50, s2, s5, v48, s2
	global_load_b64 v[47:48], v[47:48], off
	v_add_co_u32 v51, s2, v49, s4
	s_wait_alu 0xf1ff
	v_add_co_ci_u32_e64 v52, s2, s5, v50, s2
	global_load_b64 v[49:50], v[49:50], off
	v_add_co_u32 v53, s2, v51, s4
	s_wait_alu 0xf1ff
	v_add_co_ci_u32_e64 v54, s2, s5, v52, s2
	global_load_b64 v[51:52], v[51:52], off
	v_add_co_u32 v55, s2, v53, s4
	s_wait_alu 0xf1ff
	v_add_co_ci_u32_e64 v56, s2, s5, v54, s2
	global_load_b64 v[53:54], v[53:54], off
	v_add_co_u32 v57, s2, v55, s4
	s_wait_alu 0xf1ff
	v_add_co_ci_u32_e64 v58, s2, s5, v56, s2
	global_load_b64 v[55:56], v[55:56], off
	v_add_co_u32 v59, s2, v57, s4
	s_wait_alu 0xf1ff
	v_add_co_ci_u32_e64 v60, s2, s5, v58, s2
	global_load_b64 v[57:58], v[57:58], off
	v_add_co_u32 v61, s2, v59, s4
	s_wait_alu 0xf1ff
	v_add_co_ci_u32_e64 v62, s2, s5, v60, s2
	global_load_b64 v[59:60], v[59:60], off
	v_add_co_u32 v63, s2, v61, s4
	s_wait_alu 0xf1ff
	v_add_co_ci_u32_e64 v64, s2, s5, v62, s2
	global_load_b64 v[65:66], v89, s[8:9] offset:3960
	global_load_b64 v[61:62], v[61:62], off
	global_load_b64 v[69:70], v89, s[8:9] offset:4224
	global_load_b64 v[63:64], v[63:64], off
	s_wait_loadcnt 0x12
	v_mul_f32_e32 v71, v3, v5
	v_mul_f32_e32 v5, v2, v5
	s_delay_alu instid0(VALU_DEP_2) | instskip(NEXT) | instid1(VALU_DEP_2)
	v_fmac_f32_e32 v71, v2, v4
	v_fma_f32 v72, v3, v4, -v5
	s_wait_loadcnt 0x11
	v_mul_f32_e32 v2, v19, v7
	s_wait_loadcnt 0x10
	v_dual_mul_f32 v4, v29, v9 :: v_dual_mul_f32 v3, v18, v7
	v_mul_f32_e32 v5, v28, v9
	s_wait_loadcnt 0xf
	v_dual_mul_f32 v7, v36, v11 :: v_dual_fmac_f32 v2, v18, v6
	s_delay_alu instid0(VALU_DEP_3)
	v_fmac_f32_e32 v4, v28, v8
	v_fma_f32 v3, v19, v6, -v3
	s_wait_loadcnt 0xe
	v_dual_mul_f32 v6, v37, v11 :: v_dual_mul_f32 v9, v39, v1
	v_mul_f32_e32 v1, v38, v1
	v_fma_f32 v7, v37, v10, -v7
	s_delay_alu instid0(VALU_DEP_3) | instskip(NEXT) | instid1(VALU_DEP_4)
	v_dual_fmac_f32 v6, v36, v10 :: v_dual_add_nc_u32 v75, 0x800, v67
	v_fmac_f32_e32 v9, v38, v0
	s_delay_alu instid0(VALU_DEP_4) | instskip(SKIP_4) | instid1(VALU_DEP_1)
	v_fma_f32 v10, v39, v0, -v1
	ds_store_b64 v73, v[71:72]
	s_wait_loadcnt 0xd
	v_mul_f32_e32 v11, v41, v13
	s_wait_loadcnt 0xb
	v_dual_mul_f32 v0, v46, v17 :: v_dual_fmac_f32 v11, v40, v12
	v_mul_f32_e32 v1, v45, v17
	s_delay_alu instid0(VALU_DEP_2)
	v_fmac_f32_e32 v0, v45, v16
	v_fma_f32 v5, v29, v8, -v5
	v_mul_f32_e32 v8, v40, v13
	ds_store_2addr_b64 v67, v[2:3], v[4:5] offset0:33 offset1:66
	ds_store_2addr_b64 v67, v[6:7], v[9:10] offset0:99 offset1:132
	s_wait_loadcnt 0x9
	v_mul_f32_e32 v4, v50, v23
	v_mul_f32_e32 v13, v43, v15
	s_wait_loadcnt 0x8
	v_dual_mul_f32 v15, v42, v15 :: v_dual_mul_f32 v6, v52, v25
	v_fma_f32 v12, v41, v12, -v8
	v_fmac_f32_e32 v4, v49, v22
	v_fmac_f32_e32 v13, v42, v14
	s_delay_alu instid0(VALU_DEP_4)
	v_fma_f32 v14, v43, v14, -v15
	v_fmac_f32_e32 v6, v51, v24
	s_wait_loadcnt 0x7
	v_mul_f32_e32 v8, v54, v27
	v_mul_f32_e32 v2, v48, v21
	;; [unrolled: 1-line block ×4, first 2 shown]
	s_wait_loadcnt 0x6
	v_mul_f32_e32 v10, v56, v31
	v_fmac_f32_e32 v8, v53, v26
	ds_store_2addr_b64 v67, v[11:12], v[13:14] offset0:165 offset1:198
	v_mul_f32_e32 v9, v53, v27
	s_wait_loadcnt 0x5
	v_dual_mul_f32 v11, v55, v31 :: v_dual_mul_f32 v12, v58, v33
	v_mul_f32_e32 v7, v51, v25
	v_fma_f32 v1, v46, v16, -v1
	v_fmac_f32_e32 v2, v47, v20
	v_fma_f32 v5, v50, v22, -v5
	v_fmac_f32_e32 v12, v57, v32
	s_wait_loadcnt 0x4
	v_dual_mul_f32 v14, v60, v35 :: v_dual_mul_f32 v13, v57, v33
	s_wait_loadcnt 0x2
	v_dual_mul_f32 v15, v59, v35 :: v_dual_mul_f32 v16, v62, v66
	s_wait_loadcnt 0x0
	v_mul_f32_e32 v18, v64, v70
	v_mul_f32_e32 v17, v61, v66
	;; [unrolled: 1-line block ×3, first 2 shown]
	v_fma_f32 v3, v48, v20, -v3
	v_fmac_f32_e32 v16, v61, v65
	v_fma_f32 v7, v52, v24, -v7
	v_fmac_f32_e32 v10, v55, v30
	v_fma_f32 v9, v54, v26, -v9
	v_fma_f32 v11, v56, v30, -v11
	v_fmac_f32_e32 v14, v59, v34
	v_fma_f32 v13, v58, v32, -v13
	;; [unrolled: 3-line block ×3, first 2 shown]
	v_fma_f32 v19, v64, v69, -v19
	v_add_nc_u32_e32 v20, 0xc00, v67
	ds_store_2addr_b64 v74, v[0:1], v[2:3] offset0:103 offset1:136
	ds_store_2addr_b64 v75, v[4:5], v[6:7] offset0:41 offset1:74
	;; [unrolled: 1-line block ×5, first 2 shown]
.LBB0_3:
	s_or_b32 exec_lo, exec_lo, s3
	v_mov_b32_e32 v20, 0
	v_mov_b32_e32 v21, 0
	global_wb scope:SCOPE_SE
	s_wait_dscnt 0x0
	s_wait_kmcnt 0x0
	s_barrier_signal -1
	s_barrier_wait -1
	global_inv scope:SCOPE_SE
                                        ; implicit-def: $vgpr10
                                        ; implicit-def: $vgpr4
                                        ; implicit-def: $vgpr12
                                        ; implicit-def: $vgpr16
                                        ; implicit-def: $vgpr36
                                        ; implicit-def: $vgpr26
                                        ; implicit-def: $vgpr30
                                        ; implicit-def: $vgpr34
	s_and_saveexec_b32 s2, vcc_lo
	s_cbranch_execz .LBB0_5
; %bb.4:
	v_lshl_add_u32 v0, v44, 3, v89
	s_delay_alu instid0(VALU_DEP_1)
	v_add_nc_u32_e32 v1, 0x800, v0
	ds_load_2addr_b64 v[20:23], v0 offset1:33
	ds_load_2addr_b64 v[32:35], v0 offset0:66 offset1:99
	ds_load_2addr_b64 v[28:31], v0 offset0:132 offset1:165
	ds_load_2addr_b64 v[24:27], v0 offset0:198 offset1:231
	ds_load_2addr_b64 v[8:11], v1 offset0:8 offset1:41
	ds_load_2addr_b64 v[4:7], v1 offset0:74 offset1:107
	ds_load_2addr_b64 v[12:15], v1 offset0:140 offset1:173
	ds_load_2addr_b64 v[16:19], v1 offset0:206 offset1:239
	ds_load_b64 v[36:37], v0 offset:4224
.LBB0_5:
	s_wait_alu 0xfffe
	s_or_b32 exec_lo, exec_lo, s2
	s_wait_dscnt 0x0
	v_dual_sub_f32 v38, v23, v37 :: v_dual_sub_f32 v39, v22, v36
	v_dual_add_f32 v112, v36, v22 :: v_dual_add_f32 v113, v37, v23
	v_sub_f32_e32 v173, v24, v6
	s_delay_alu instid0(VALU_DEP_3) | instskip(SKIP_3) | instid1(VALU_DEP_4)
	v_dual_mul_f32 v45, 0xbeb8f4ab, v38 :: v_dual_mul_f32 v46, 0xbeb8f4ab, v39
	v_dual_mul_f32 v53, 0xbf65296c, v38 :: v_dual_mul_f32 v58, 0xbf65296c, v39
	v_sub_f32_e32 v171, v25, v7
	v_mul_f32_e32 v148, 0xbf763a35, v39
	v_fma_f32 v1, 0x3f6eb680, v113, -v46
	v_fmamk_f32 v0, v112, 0x3f6eb680, v45
	v_fma_f32 v41, 0x3ee437d1, v113, -v58
	v_fmamk_f32 v40, v112, 0x3ee437d1, v53
	v_fma_f32 v134, 0xbe8c1d8e, v113, -v148
	v_add_f32_e32 v1, v1, v21
	v_dual_mul_f32 v49, 0xbf2c7751, v38 :: v_dual_add_f32 v0, v0, v20
	v_add_f32_e32 v52, v41, v21
	v_dual_sub_f32 v41, v33, v19 :: v_dual_mul_f32 v60, 0xbf7ee86f, v38
	v_add_f32_e32 v43, v40, v20
	s_delay_alu instid0(VALU_DEP_4) | instskip(SKIP_1) | instid1(VALU_DEP_4)
	v_fmamk_f32 v2, v112, 0x3f3d2fb0, v49
	v_mul_f32_e32 v51, 0xbf2c7751, v39
	v_dual_add_f32 v109, v19, v33 :: v_dual_fmamk_f32 v42, v112, 0x3dbcf732, v60
	v_mul_f32_e32 v64, 0xbf7ee86f, v39
	s_delay_alu instid0(VALU_DEP_4) | instskip(NEXT) | instid1(VALU_DEP_4)
	v_add_f32_e32 v2, v2, v20
	v_fma_f32 v3, 0x3f3d2fb0, v113, -v51
	s_delay_alu instid0(VALU_DEP_4) | instskip(NEXT) | instid1(VALU_DEP_4)
	v_dual_sub_f32 v40, v32, v18 :: v_dual_add_f32 v55, v42, v20
	v_fma_f32 v47, 0x3dbcf732, v113, -v64
	v_dual_add_f32 v106, v18, v32 :: v_dual_mul_f32 v59, 0xbf4c4adb, v41
	s_delay_alu instid0(VALU_DEP_4) | instskip(SKIP_1) | instid1(VALU_DEP_4)
	v_add_f32_e32 v3, v3, v21
	v_mul_f32_e32 v54, 0xbf7ee86f, v41
	v_add_f32_e32 v56, v47, v21
	v_mul_f32_e32 v47, 0xbf2c7751, v41
	v_mul_f32_e32 v57, 0xbf7ee86f, v40
	v_dual_mul_f32 v48, 0xbf2c7751, v40 :: v_dual_add_f32 v115, v16, v34
	v_mul_f32_e32 v80, 0xbe3c28d5, v41
	s_delay_alu instid0(VALU_DEP_4) | instskip(NEXT) | instid1(VALU_DEP_4)
	v_fmamk_f32 v42, v106, 0x3f3d2fb0, v47
	v_fma_f32 v62, 0x3dbcf732, v109, -v57
	s_delay_alu instid0(VALU_DEP_4)
	v_fma_f32 v50, 0x3f3d2fb0, v109, -v48
	v_mul_f32_e32 v83, 0xbe3c28d5, v40
	v_mul_f32_e32 v149, 0x3f06c442, v40
	v_add_f32_e32 v0, v42, v0
	v_fmamk_f32 v42, v106, 0xbf1a4643, v59
	v_add_f32_e32 v3, v62, v3
	v_fmamk_f32 v61, v106, 0x3dbcf732, v54
	v_add_f32_e32 v1, v50, v1
	v_add_f32_e32 v117, v17, v35
	v_dual_add_f32 v63, v42, v43 :: v_dual_sub_f32 v42, v35, v17
	s_delay_alu instid0(VALU_DEP_4)
	v_add_f32_e32 v2, v61, v2
	v_fma_f32 v62, 0xbf7ba420, v109, -v83
	v_fma_f32 v141, 0xbf59a7d5, v109, -v149
	v_mul_f32_e32 v137, 0x3f06c442, v41
	v_mul_f32_e32 v50, 0xbf65296c, v42
	v_add_f32_e32 v120, v15, v29
	v_dual_add_f32 v70, v62, v56 :: v_dual_mul_f32 v157, 0x3f763a35, v41
	v_mul_f32_e32 v166, 0x3f763a35, v40
	s_delay_alu instid0(VALU_DEP_4)
	v_fmamk_f32 v67, v115, 0x3ee437d1, v50
	v_fmamk_f32 v61, v106, 0xbf7ba420, v80
	v_sub_f32_e32 v151, v29, v15
	v_add_f32_e32 v119, v14, v28
	v_fmamk_f32 v156, v106, 0xbe8c1d8e, v157
	v_add_f32_e32 v0, v67, v0
	v_dual_mul_f32 v66, 0xbf4c4adb, v40 :: v_dual_add_f32 v69, v61, v55
	v_mul_f32_e32 v67, 0x3e3c28d5, v42
	v_mul_f32_e32 v61, 0xbf4c4adb, v42
	;; [unrolled: 1-line block ×3, first 2 shown]
	s_delay_alu instid0(VALU_DEP_4)
	v_fma_f32 v43, 0xbf1a4643, v109, -v66
	v_mul_f32_e32 v165, 0xbf4c4adb, v39
	v_fmamk_f32 v72, v115, 0xbf7ba420, v67
	v_fmamk_f32 v56, v115, 0xbf1a4643, v61
	v_mul_f32_e32 v155, 0xbf4c4adb, v38
	v_add_f32_e32 v65, v43, v52
	v_sub_f32_e32 v43, v34, v16
	v_add_f32_e32 v63, v72, v63
	v_add_f32_e32 v2, v56, v2
	v_mul_f32_e32 v81, 0x3f763a35, v42
	v_fma_f32 v159, 0xbe8c1d8e, v109, -v166
	v_mul_f32_e32 v96, 0x3f763a35, v43
	v_mul_f32_e32 v52, 0xbf65296c, v43
	;; [unrolled: 1-line block ×5, first 2 shown]
	v_fma_f32 v72, 0xbe8c1d8e, v117, -v96
	v_fma_f32 v55, 0x3ee437d1, v117, -v52
	v_dual_mul_f32 v201, 0x3eb8f4ab, v40 :: v_dual_sub_f32 v92, v28, v14
	v_fma_f32 v182, 0xbf59a7d5, v113, -v192
	s_delay_alu instid0(VALU_DEP_3) | instskip(SKIP_4) | instid1(VALU_DEP_4)
	v_dual_add_f32 v70, v72, v70 :: v_dual_add_f32 v1, v55, v1
	v_fma_f32 v55, 0xbf7ba420, v117, -v79
	v_mul_f32_e32 v62, 0xbf4c4adb, v43
	v_mul_f32_e32 v56, 0xbf7ee86f, v92
	v_dual_mul_f32 v93, 0x3f763a35, v92 :: v_dual_sub_f32 v162, v31, v13
	v_add_f32_e32 v65, v55, v65
	s_delay_alu instid0(VALU_DEP_4) | instskip(SKIP_3) | instid1(VALU_DEP_4)
	v_fma_f32 v71, 0xbf1a4643, v117, -v62
	v_mul_f32_e32 v55, 0xbf7ee86f, v151
	v_mul_f32_e32 v98, 0x3eb8f4ab, v92
	v_dual_mul_f32 v168, 0xbf06c442, v92 :: v_dual_add_f32 v185, v182, v21
	v_add_f32_e32 v3, v71, v3
	s_delay_alu instid0(VALU_DEP_4) | instskip(SKIP_3) | instid1(VALU_DEP_4)
	v_fmamk_f32 v73, v119, 0x3dbcf732, v55
	v_mul_f32_e32 v75, 0xbe3c28d5, v151
	v_fmamk_f32 v71, v115, 0xbe8c1d8e, v81
	v_dual_sub_f32 v153, v30, v12 :: v_dual_add_f32 v122, v12, v30
	v_add_f32_e32 v0, v73, v0
	v_fma_f32 v73, 0xbe8c1d8e, v120, -v93
	v_fmamk_f32 v72, v119, 0xbf7ba420, v75
	v_add_f32_e32 v69, v71, v69
	v_fma_f32 v71, 0x3dbcf732, v120, -v56
	s_delay_alu instid0(VALU_DEP_4) | instskip(NEXT) | instid1(VALU_DEP_4)
	v_dual_mul_f32 v84, 0x3f06c442, v162 :: v_dual_add_f32 v73, v73, v65
	v_add_f32_e32 v2, v72, v2
	v_fmamk_f32 v72, v119, 0xbe8c1d8e, v82
	v_mul_f32_e32 v77, 0xbe3c28d5, v92
	v_add_f32_e32 v1, v71, v1
	v_dual_add_f32 v123, v13, v31 :: v_dual_fmamk_f32 v76, v122, 0xbf59a7d5, v84
	s_delay_alu instid0(VALU_DEP_4) | instskip(NEXT) | instid1(VALU_DEP_4)
	v_add_f32_e32 v72, v72, v63
	v_fma_f32 v71, 0xbf7ba420, v120, -v77
	v_fma_f32 v63, 0x3f6eb680, v120, -v98
	v_mul_f32_e32 v95, 0x3eb8f4ab, v151
	v_dual_mul_f32 v65, 0xbf763a35, v153 :: v_dual_add_f32 v126, v6, v24
	s_delay_alu instid0(VALU_DEP_4) | instskip(NEXT) | instid1(VALU_DEP_4)
	v_add_f32_e32 v3, v71, v3
	v_add_f32_e32 v70, v63, v70
	s_delay_alu instid0(VALU_DEP_4) | instskip(SKIP_2) | instid1(VALU_DEP_3)
	v_dual_fmamk_f32 v71, v119, 0x3f6eb680, v95 :: v_dual_add_f32 v2, v76, v2
	v_mul_f32_e32 v63, 0xbf763a35, v162
	v_mul_f32_e32 v85, 0x3f06c442, v153
	v_dual_mul_f32 v94, 0x3f2c7751, v162 :: v_dual_add_f32 v69, v71, v69
	v_mul_f32_e32 v111, 0xbf65296c, v153
	s_delay_alu instid0(VALU_DEP_4) | instskip(NEXT) | instid1(VALU_DEP_4)
	v_fmamk_f32 v71, v122, 0xbe8c1d8e, v63
	v_fma_f32 v78, 0xbf59a7d5, v123, -v85
	v_fma_f32 v74, 0xbe8c1d8e, v123, -v65
	v_mul_f32_e32 v104, 0x3f2c7751, v153
	v_add_f32_e32 v128, v7, v25
	v_dual_add_f32 v0, v71, v0 :: v_dual_fmamk_f32 v71, v122, 0x3f3d2fb0, v94
	v_add_f32_e32 v3, v78, v3
	v_fma_f32 v78, 0x3ee437d1, v123, -v111
	v_mul_f32_e32 v107, 0xbf65296c, v162
	s_delay_alu instid0(VALU_DEP_4) | instskip(SKIP_1) | instid1(VALU_DEP_4)
	v_dual_add_f32 v130, v4, v26 :: v_dual_add_f32 v71, v71, v72
	v_fma_f32 v72, 0x3f3d2fb0, v123, -v104
	v_add_f32_e32 v70, v78, v70
	v_mul_f32_e32 v78, 0xbf4c4adb, v173
	v_dual_add_f32 v1, v74, v1 :: v_dual_mul_f32 v76, 0xbf4c4adb, v171
	s_delay_alu instid0(VALU_DEP_4)
	v_add_f32_e32 v72, v72, v73
	v_mul_f32_e32 v86, 0x3f763a35, v171
	v_mul_f32_e32 v100, 0x3f763a35, v173
	v_dual_mul_f32 v103, 0xbeb8f4ab, v171 :: v_dual_mul_f32 v110, 0xbeb8f4ab, v173
	v_fmamk_f32 v73, v126, 0xbf1a4643, v76
	v_mul_f32_e32 v116, 0xbf06c442, v171
	s_delay_alu instid0(VALU_DEP_4) | instskip(NEXT) | instid1(VALU_DEP_4)
	v_fma_f32 v87, 0xbe8c1d8e, v128, -v100
	v_dual_fmamk_f32 v88, v126, 0x3f6eb680, v103 :: v_dual_sub_f32 v193, v27, v5
	s_delay_alu instid0(VALU_DEP_4) | instskip(SKIP_4) | instid1(VALU_DEP_4)
	v_add_f32_e32 v0, v73, v0
	v_fmamk_f32 v74, v122, 0x3ee437d1, v107
	v_fma_f32 v73, 0xbf1a4643, v128, -v78
	v_dual_mul_f32 v118, 0xbf06c442, v173 :: v_dual_sub_f32 v197, v26, v4
	v_add_f32_e32 v3, v87, v3
	v_add_f32_e32 v69, v74, v69
	s_delay_alu instid0(VALU_DEP_4) | instskip(SKIP_3) | instid1(VALU_DEP_4)
	v_dual_fmamk_f32 v74, v126, 0xbe8c1d8e, v86 :: v_dual_add_f32 v1, v73, v1
	v_fma_f32 v73, 0x3f6eb680, v128, -v110
	v_add_f32_e32 v71, v88, v71
	v_dual_add_f32 v131, v5, v27 :: v_dual_mul_f32 v88, 0xbf06c442, v197
	v_add_f32_e32 v2, v74, v2
	s_delay_alu instid0(VALU_DEP_4) | instskip(SKIP_3) | instid1(VALU_DEP_4)
	v_dual_add_f32 v72, v73, v72 :: v_dual_fmamk_f32 v73, v126, 0xbf59a7d5, v116
	v_fma_f32 v74, 0xbf59a7d5, v128, -v118
	v_mul_f32_e32 v87, 0xbf06c442, v193
	v_dual_mul_f32 v97, 0x3f65296c, v193 :: v_dual_sub_f32 v198, v9, v11
	v_add_f32_e32 v73, v73, v69
	v_fma_f32 v99, 0xbf59a7d5, v131, -v88
	v_add_f32_e32 v74, v74, v70
	s_delay_alu instid0(VALU_DEP_4) | instskip(SKIP_3) | instid1(VALU_DEP_3)
	v_fmamk_f32 v70, v130, 0x3ee437d1, v97
	v_dual_fmamk_f32 v69, v130, 0xbf59a7d5, v87 :: v_dual_sub_f32 v204, v8, v10
	v_mul_f32_e32 v102, 0x3f65296c, v197
	v_dual_mul_f32 v114, 0xbf7ee86f, v193 :: v_dual_add_f32 v133, v10, v8
	v_dual_add_f32 v0, v69, v0 :: v_dual_add_f32 v1, v99, v1
	v_add_f32_e32 v69, v70, v2
	s_delay_alu instid0(VALU_DEP_3) | instskip(SKIP_3) | instid1(VALU_DEP_4)
	v_fmamk_f32 v70, v130, 0x3dbcf732, v114
	v_fma_f32 v2, 0x3ee437d1, v131, -v102
	v_mul_f32_e32 v99, 0xbe3c28d5, v198
	v_mul_f32_e32 v125, 0xbf7ee86f, v197
	v_dual_add_f32 v135, v11, v9 :: v_dual_add_f32 v70, v70, v71
	s_delay_alu instid0(VALU_DEP_3) | instskip(SKIP_1) | instid1(VALU_DEP_4)
	v_dual_add_f32 v129, v2, v3 :: v_dual_fmamk_f32 v2, v133, 0xbf7ba420, v99
	v_dual_mul_f32 v105, 0x3eb8f4ab, v198 :: v_dual_mul_f32 v108, 0x3eb8f4ab, v204
	v_fma_f32 v71, 0x3dbcf732, v131, -v125
	s_delay_alu instid0(VALU_DEP_3) | instskip(NEXT) | instid1(VALU_DEP_3)
	v_dual_mul_f32 v127, 0x3f4c4adb, v193 :: v_dual_add_f32 v2, v2, v0
	v_fmamk_f32 v0, v133, 0x3f6eb680, v105
	v_mul_f32_e32 v124, 0xbf06c442, v204
	s_delay_alu instid0(VALU_DEP_4)
	v_add_f32_e32 v71, v71, v72
	v_mul_f32_e32 v101, 0xbe3c28d5, v204
	v_mul_f32_e32 v136, 0xbf763a35, v38
	v_add_f32_e32 v0, v0, v69
	v_fma_f32 v72, 0xbf59a7d5, v135, -v124
	v_add_f32_e32 v134, v134, v21
	v_fma_f32 v3, 0xbf7ba420, v135, -v101
	v_mul_f32_e32 v150, 0x3f2c7751, v43
	v_mul_f32_e32 v146, 0xbe3c28d5, v153
	;; [unrolled: 1-line block ×3, first 2 shown]
	s_delay_alu instid0(VALU_DEP_4) | instskip(SKIP_2) | instid1(VALU_DEP_4)
	v_dual_mul_f32 v182, 0xbf7ee86f, v43 :: v_dual_add_f32 v3, v3, v1
	v_fma_f32 v1, 0x3f6eb680, v135, -v108
	v_mul_f32_e32 v167, 0xbeb8f4ab, v43
	v_fma_f32 v190, 0xbf7ba420, v128, -v188
	v_mul_f32_e32 v180, 0x3f65296c, v40
	v_fma_f32 v187, 0x3dbcf732, v117, -v182
	v_add_f32_e32 v1, v1, v129
	v_fmamk_f32 v129, v130, 0xbf1a4643, v127
	v_mul_f32_e32 v121, 0xbf06c442, v198
	v_mul_f32_e32 v158, 0xbeb8f4ab, v42
	v_fma_f32 v186, 0x3ee437d1, v109, -v180
	v_mul_f32_e32 v191, 0x3f2c7751, v197
	v_mul_f32_e32 v203, 0x3f2c7751, v92
	v_fmamk_f32 v69, v133, 0xbf59a7d5, v121
	v_mul_f32_e32 v132, 0x3f4c4adb, v197
	v_mul_f32_e32 v195, 0xbf4c4adb, v153
	;; [unrolled: 1-line block ×4, first 2 shown]
	v_dual_add_f32 v69, v69, v70 :: v_dual_add_f32 v70, v72, v71
	v_fma_f32 v71, 0xbf1a4643, v131, -v132
	v_dual_add_f32 v72, v129, v73 :: v_dual_fmamk_f32 v73, v112, 0xbe8c1d8e, v136
	v_mul_f32_e32 v129, 0x3f2c7751, v198
	s_clause 0x1
	s_load_b64 s[4:5], s[0:1], 0x20
	s_load_b64 s[2:3], s[0:1], 0x8
	v_add_f32_e32 v74, v71, v74
	global_wb scope:SCOPE_SE
	v_add_f32_e32 v71, v73, v20
	v_fmamk_f32 v73, v106, 0xbf59a7d5, v137
	v_mul_f32_e32 v138, 0x3f2c7751, v42
	s_wait_kmcnt 0x0
	s_barrier_signal -1
	s_barrier_wait -1
	global_inv scope:SCOPE_SE
	v_add_f32_e32 v73, v73, v71
	v_dual_fmamk_f32 v139, v133, 0x3f3d2fb0, v129 :: v_dual_fmamk_f32 v142, v115, 0x3f3d2fb0, v138
	v_mul_f32_e32 v140, 0xbf65296c, v151
	v_mul_f32_e32 v169, 0x3f7ee86f, v153
	v_add_f32_e32 v185, v186, v185
	s_delay_alu instid0(VALU_DEP_4) | instskip(NEXT) | instid1(VALU_DEP_4)
	v_dual_add_f32 v71, v139, v72 :: v_dual_add_f32 v72, v141, v134
	v_dual_add_f32 v73, v142, v73 :: v_dual_fmamk_f32 v142, v119, 0x3ee437d1, v140
	v_fma_f32 v139, 0x3f3d2fb0, v117, -v150
	v_mul_f32_e32 v144, 0xbf65296c, v92
	v_mul_f32_e32 v141, 0xbe3c28d5, v162
	v_fma_f32 v170, 0x3dbcf732, v123, -v169
	s_delay_alu instid0(VALU_DEP_4) | instskip(NEXT) | instid1(VALU_DEP_4)
	v_dual_add_f32 v73, v142, v73 :: v_dual_add_f32 v72, v139, v72
	v_fma_f32 v142, 0x3ee437d1, v120, -v144
	s_delay_alu instid0(VALU_DEP_4) | instskip(SKIP_1) | instid1(VALU_DEP_2)
	v_fmamk_f32 v143, v122, 0xbf7ba420, v141
	v_dual_mul_f32 v134, 0x3f2c7751, v204 :: v_dual_add_f32 v185, v187, v185
	v_dual_add_f32 v152, v142, v72 :: v_dual_add_f32 v73, v143, v73
	s_delay_alu instid0(VALU_DEP_2) | instskip(SKIP_3) | instid1(VALU_DEP_4)
	v_fma_f32 v147, 0x3f3d2fb0, v135, -v134
	v_fma_f32 v143, 0xbf7ba420, v123, -v146
	v_mul_f32_e32 v139, 0x3f7ee86f, v171
	v_mul_f32_e32 v142, 0xbeb8f4ab, v193
	v_add_f32_e32 v72, v147, v74
	s_delay_alu instid0(VALU_DEP_4) | instskip(NEXT) | instid1(VALU_DEP_3)
	v_dual_add_f32 v74, v143, v152 :: v_dual_mul_f32 v143, 0xbeb8f4ab, v197
	v_fmamk_f32 v152, v130, 0x3f6eb680, v142
	v_fmamk_f32 v154, v126, 0x3dbcf732, v139
	s_delay_alu instid0(VALU_DEP_1) | instskip(SKIP_1) | instid1(VALU_DEP_2)
	v_add_f32_e32 v73, v154, v73
	v_fma_f32 v154, 0xbf1a4643, v113, -v165
	v_add_f32_e32 v73, v152, v73
	s_delay_alu instid0(VALU_DEP_2) | instskip(SKIP_1) | instid1(VALU_DEP_1)
	v_add_f32_e32 v154, v154, v21
	v_fmamk_f32 v152, v112, 0xbf1a4643, v155
	v_dual_mul_f32 v145, 0x3f7ee86f, v173 :: v_dual_add_f32 v152, v152, v20
	s_delay_alu instid0(VALU_DEP_1) | instskip(NEXT) | instid1(VALU_DEP_2)
	v_fma_f32 v147, 0x3dbcf732, v128, -v145
	v_add_f32_e32 v152, v156, v152
	s_delay_alu instid0(VALU_DEP_2) | instskip(SKIP_2) | instid1(VALU_DEP_2)
	v_add_f32_e32 v74, v147, v74
	v_fma_f32 v147, 0x3f6eb680, v131, -v143
	v_fmamk_f32 v156, v115, 0x3f6eb680, v158
	v_add_f32_e32 v74, v147, v74
	s_delay_alu instid0(VALU_DEP_2) | instskip(SKIP_2) | instid1(VALU_DEP_1)
	v_dual_mul_f32 v147, 0xbf4c4adb, v198 :: v_dual_add_f32 v152, v156, v152
	v_add_f32_e32 v154, v159, v154
	v_fma_f32 v159, 0x3f6eb680, v117, -v167
	v_dual_fmamk_f32 v163, v133, 0xbf1a4643, v147 :: v_dual_add_f32 v154, v159, v154
	v_fma_f32 v159, 0xbf59a7d5, v120, -v168
	s_delay_alu instid0(VALU_DEP_2) | instskip(SKIP_2) | instid1(VALU_DEP_4)
	v_add_f32_e32 v73, v163, v73
	v_mul_f32_e32 v163, 0xbf2c7751, v173
	v_mul_f32_e32 v173, 0x3f7ee86f, v198
	v_add_f32_e32 v154, v159, v154
	s_delay_alu instid0(VALU_DEP_3) | instskip(NEXT) | instid1(VALU_DEP_2)
	v_fma_f32 v174, 0x3f3d2fb0, v128, -v163
	v_add_f32_e32 v154, v170, v154
	s_delay_alu instid0(VALU_DEP_1) | instskip(NEXT) | instid1(VALU_DEP_1)
	v_dual_mul_f32 v160, 0xbf06c442, v151 :: v_dual_add_f32 v179, v174, v154
	v_fmamk_f32 v156, v119, 0xbf59a7d5, v160
	v_mul_f32_e32 v161, 0x3f7ee86f, v162
	v_mul_f32_e32 v174, 0x3f65296c, v41
	s_delay_alu instid0(VALU_DEP_2) | instskip(SKIP_1) | instid1(VALU_DEP_3)
	v_dual_add_f32 v164, v156, v152 :: v_dual_fmamk_f32 v159, v122, 0x3dbcf732, v161
	v_mul_f32_e32 v152, 0xbf4c4adb, v204
	v_fmamk_f32 v184, v106, 0x3ee437d1, v174
	s_delay_alu instid0(VALU_DEP_3) | instskip(SKIP_1) | instid1(VALU_DEP_4)
	v_dual_add_f32 v172, v159, v164 :: v_dual_mul_f32 v159, 0xbe3c28d5, v193
	v_mul_f32_e32 v164, 0xbe3c28d5, v197
	v_fma_f32 v176, 0xbf1a4643, v135, -v152
	v_mul_f32_e32 v197, 0xbf763a35, v197
	s_delay_alu instid0(VALU_DEP_4) | instskip(SKIP_4) | instid1(VALU_DEP_3)
	v_fmamk_f32 v178, v130, 0xbf7ba420, v159
	v_mul_f32_e32 v156, 0xbf2c7751, v171
	v_fma_f32 v181, 0xbf7ba420, v131, -v164
	v_add_f32_e32 v74, v176, v74
	v_mul_f32_e32 v176, 0x3f4c4adb, v151
	v_dual_fmamk_f32 v170, v126, 0x3f3d2fb0, v156 :: v_dual_add_f32 v205, v181, v179
	s_delay_alu instid0(VALU_DEP_1) | instskip(NEXT) | instid1(VALU_DEP_1)
	v_dual_add_f32 v177, v170, v172 :: v_dual_mul_f32 v172, 0xbf06c442, v38
	v_fmamk_f32 v175, v112, 0xbf59a7d5, v172
	s_delay_alu instid0(VALU_DEP_1) | instskip(NEXT) | instid1(VALU_DEP_1)
	v_add_f32_e32 v183, v175, v20
	v_dual_mul_f32 v175, 0xbf7ee86f, v42 :: v_dual_add_f32 v184, v184, v183
	v_mul_f32_e32 v183, 0x3f4c4adb, v92
	s_delay_alu instid0(VALU_DEP_2) | instskip(SKIP_1) | instid1(VALU_DEP_3)
	v_fmamk_f32 v186, v115, 0x3dbcf732, v175
	v_fma_f32 v92, 0xbe8c1d8e, v135, -v199
	v_fma_f32 v187, 0xbf1a4643, v120, -v183
	s_delay_alu instid0(VALU_DEP_1) | instskip(SKIP_4) | instid1(VALU_DEP_3)
	v_add_f32_e32 v181, v187, v185
	v_add_f32_e32 v189, v178, v177
	v_dual_add_f32 v177, v186, v184 :: v_dual_fmamk_f32 v186, v119, 0xbf1a4643, v176
	v_mul_f32_e32 v178, 0xbeb8f4ab, v162
	v_mul_f32_e32 v184, 0xbeb8f4ab, v153
	v_add_f32_e32 v177, v186, v177
	s_delay_alu instid0(VALU_DEP_3) | instskip(NEXT) | instid1(VALU_DEP_3)
	v_fmamk_f32 v185, v122, 0x3f6eb680, v178
	v_fma_f32 v186, 0x3f6eb680, v123, -v184
	s_delay_alu instid0(VALU_DEP_2) | instskip(NEXT) | instid1(VALU_DEP_2)
	v_dual_mul_f32 v154, 0x3f65296c, v198 :: v_dual_add_f32 v177, v185, v177
	v_add_f32_e32 v185, v186, v181
	v_mul_f32_e32 v181, 0x3f2c7751, v193
	v_mul_f32_e32 v193, 0xbf763a35, v193
	s_delay_alu instid0(VALU_DEP_3) | instskip(SKIP_3) | instid1(VALU_DEP_3)
	v_add_f32_e32 v185, v190, v185
	v_fma_f32 v190, 0x3f3d2fb0, v131, -v191
	v_mul_f32_e32 v179, 0xbe3c28d5, v171
	v_fmamk_f32 v194, v130, 0x3f3d2fb0, v181
	v_add_f32_e32 v208, v190, v185
	s_delay_alu instid0(VALU_DEP_3)
	v_fmamk_f32 v186, v126, 0xbf7ba420, v179
	v_mul_f32_e32 v185, 0x3eb8f4ab, v41
	v_fma_f32 v41, 0xbf7ba420, v113, -v200
	v_mul_f32_e32 v170, 0x3f65296c, v204
	v_mul_f32_e32 v190, 0x3f65296c, v171
	v_dual_add_f32 v186, v186, v177 :: v_dual_mul_f32 v177, 0xbe3c28d5, v38
	s_delay_alu instid0(VALU_DEP_4) | instskip(NEXT) | instid1(VALU_DEP_4)
	v_add_f32_e32 v41, v41, v21
	v_fma_f32 v206, 0x3ee437d1, v135, -v170
	s_delay_alu instid0(VALU_DEP_3) | instskip(SKIP_4) | instid1(VALU_DEP_3)
	v_dual_mul_f32 v202, 0xbf06c442, v43 :: v_dual_add_f32 v207, v194, v186
	v_mul_f32_e32 v186, 0xbf06c442, v42
	v_fma_f32 v42, 0x3f6eb680, v109, -v201
	v_fmamk_f32 v39, v112, 0xbf7ba420, v177
	v_fmamk_f32 v40, v106, 0x3f6eb680, v185
	v_add_f32_e32 v41, v42, v41
	v_fma_f32 v42, 0xbf59a7d5, v117, -v202
	s_delay_alu instid0(VALU_DEP_4) | instskip(NEXT) | instid1(VALU_DEP_2)
	v_add_f32_e32 v39, v39, v20
	v_add_f32_e32 v41, v42, v41
	v_fma_f32 v42, 0x3f3d2fb0, v120, -v203
	s_delay_alu instid0(VALU_DEP_3) | instskip(NEXT) | instid1(VALU_DEP_2)
	v_add_f32_e32 v39, v40, v39
	v_add_f32_e32 v41, v42, v41
	v_fma_f32 v42, 0xbf1a4643, v123, -v195
	v_mul_f32_e32 v194, 0xbf763a35, v198
	s_delay_alu instid0(VALU_DEP_2) | instskip(SKIP_2) | instid1(VALU_DEP_1)
	v_dual_mul_f32 v198, 0x3f7ee86f, v204 :: v_dual_add_f32 v41, v42, v41
	v_fma_f32 v42, 0x3ee437d1, v128, -v196
	v_fmamk_f32 v187, v133, 0x3ee437d1, v154
	v_dual_fmamk_f32 v43, v133, 0xbe8c1d8e, v194 :: v_dual_add_f32 v38, v187, v189
	v_mul_f32_e32 v187, 0x3f2c7751, v151
	v_mul_f32_e32 v189, 0xbf4c4adb, v162
	v_fma_f32 v162, 0x3dbcf732, v135, -v198
	v_fmamk_f32 v40, v115, 0xbf59a7d5, v186
	s_delay_alu instid0(VALU_DEP_1) | instskip(NEXT) | instid1(VALU_DEP_1)
	v_dual_add_f32 v39, v40, v39 :: v_dual_fmamk_f32 v40, v119, 0x3f3d2fb0, v187
	v_dual_add_f32 v39, v40, v39 :: v_dual_fmamk_f32 v40, v122, 0xbf1a4643, v189
	s_delay_alu instid0(VALU_DEP_1) | instskip(NEXT) | instid1(VALU_DEP_1)
	v_dual_add_f32 v39, v40, v39 :: v_dual_fmamk_f32 v40, v126, 0x3ee437d1, v190
	v_dual_add_f32 v39, v40, v39 :: v_dual_add_f32 v40, v42, v41
	v_fmamk_f32 v41, v130, 0xbe8c1d8e, v193
	v_fma_f32 v42, 0xbe8c1d8e, v131, -v197
	s_delay_alu instid0(VALU_DEP_2) | instskip(NEXT) | instid1(VALU_DEP_2)
	v_add_f32_e32 v151, v41, v39
	v_dual_add_f32 v153, v42, v40 :: v_dual_fmamk_f32 v42, v133, 0x3dbcf732, v173
	v_dual_add_f32 v39, v206, v205 :: v_dual_add_f32 v40, v43, v207
	v_add_f32_e32 v41, v92, v208
	s_delay_alu instid0(VALU_DEP_3) | instskip(NEXT) | instid1(VALU_DEP_4)
	v_add_f32_e32 v43, v162, v153
	v_add_f32_e32 v42, v42, v151
	v_mul_lo_u16 v92, v90, 17
	s_and_saveexec_b32 s0, vcc_lo
	s_cbranch_execz .LBB0_7
; %bb.6:
	v_mul_f32_e32 v204, 0xbf7ba420, v113
	v_mul_f32_e32 v151, 0x3f6eb680, v112
	;; [unrolled: 1-line block ×3, first 2 shown]
	v_dual_mul_f32 v162, 0x3f3d2fb0, v112 :: v_dual_mul_f32 v171, 0x3f3d2fb0, v113
	s_delay_alu instid0(VALU_DEP_4) | instskip(SKIP_3) | instid1(VALU_DEP_3)
	v_add_f32_e32 v200, v200, v204
	v_mul_f32_e32 v204, 0x3f6eb680, v109
	v_dual_mul_f32 v205, 0x3ee437d1, v112 :: v_dual_mul_f32 v206, 0x3ee437d1, v113
	v_dual_mul_f32 v207, 0x3dbcf732, v112 :: v_dual_mul_f32 v208, 0x3dbcf732, v113
	v_dual_add_f32 v200, v200, v21 :: v_dual_add_f32 v201, v201, v204
	v_dual_mul_f32 v204, 0xbf59a7d5, v117 :: v_dual_mul_f32 v213, 0xbf59a7d5, v112
	v_dual_mul_f32 v209, 0xbe8c1d8e, v112 :: v_dual_mul_f32 v210, 0xbe8c1d8e, v113
	s_delay_alu instid0(VALU_DEP_3) | instskip(NEXT) | instid1(VALU_DEP_3)
	v_add_f32_e32 v200, v201, v200
	v_dual_add_f32 v201, v202, v204 :: v_dual_mul_f32 v204, 0xbf59a7d5, v113
	v_mul_f32_e32 v202, 0x3f3d2fb0, v120
	v_dual_mul_f32 v211, 0xbf1a4643, v112 :: v_dual_mul_f32 v212, 0xbf1a4643, v113
	s_delay_alu instid0(VALU_DEP_3) | instskip(NEXT) | instid1(VALU_DEP_3)
	v_dual_mul_f32 v113, 0x3f3d2fb0, v109 :: v_dual_add_f32 v200, v201, v200
	v_add_f32_e32 v201, v203, v202
	v_dual_mul_f32 v203, 0x3ee437d1, v109 :: v_dual_add_f32 v192, v192, v204
	v_mul_f32_e32 v202, 0x3dbcf732, v106
	v_sub_f32_e32 v172, v213, v172
	s_delay_alu instid0(VALU_DEP_4) | instskip(NEXT) | instid1(VALU_DEP_4)
	v_dual_add_f32 v200, v201, v200 :: v_dual_mul_f32 v201, 0x3ee437d1, v106
	v_add_f32_e32 v192, v192, v21
	v_dual_add_f32 v180, v180, v203 :: v_dual_mul_f32 v203, 0x3dbcf732, v117
	v_mul_f32_e32 v214, 0xbf7ba420, v112
	s_delay_alu instid0(VALU_DEP_4) | instskip(NEXT) | instid1(VALU_DEP_3)
	v_sub_f32_e32 v174, v201, v174
	v_dual_mul_f32 v201, 0xbf1a4643, v106 :: v_dual_add_f32 v180, v180, v192
	v_mul_f32_e32 v192, 0x3dbcf732, v115
	v_dual_add_f32 v182, v182, v203 :: v_dual_mul_f32 v203, 0xbf1a4643, v109
	v_dual_add_f32 v172, v172, v20 :: v_dual_mul_f32 v213, 0x3f6eb680, v115
	s_delay_alu instid0(VALU_DEP_2) | instskip(SKIP_1) | instid1(VALU_DEP_3)
	v_dual_sub_f32 v175, v192, v175 :: v_dual_add_f32 v180, v182, v180
	v_mul_f32_e32 v182, 0xbf1a4643, v119
	v_add_f32_e32 v172, v174, v172
	v_mul_f32_e32 v174, 0xbf1a4643, v120
	v_sub_f32_e32 v158, v213, v158
	v_sub_f32_e32 v136, v209, v136
	;; [unrolled: 1-line block ×3, first 2 shown]
	v_add_f32_e32 v172, v175, v172
	v_dual_add_f32 v174, v183, v174 :: v_dual_mul_f32 v175, 0x3f6eb680, v123
	v_mul_f32_e32 v112, 0x3f3d2fb0, v106
	v_mul_f32_e32 v183, 0xbf7ba420, v109
	v_dual_mul_f32 v182, 0xbf59a7d5, v106 :: v_dual_sub_f32 v177, v214, v177
	s_delay_alu instid0(VALU_DEP_4) | instskip(SKIP_2) | instid1(VALU_DEP_4)
	v_add_f32_e32 v174, v174, v180
	v_dual_mul_f32 v180, 0x3f6eb680, v122 :: v_dual_add_f32 v175, v184, v175
	v_add_f32_e32 v172, v176, v172
	v_add_f32_e32 v177, v177, v20
	s_delay_alu instid0(VALU_DEP_3) | instskip(NEXT) | instid1(VALU_DEP_4)
	v_dual_add_f32 v165, v165, v212 :: v_dual_sub_f32 v178, v180, v178
	v_add_f32_e32 v174, v175, v174
	v_mul_f32_e32 v175, 0xbf7ba420, v126
	v_mul_f32_e32 v204, 0x3dbcf732, v109
	;; [unrolled: 1-line block ×3, first 2 shown]
	v_add_f32_e32 v172, v178, v172
	v_mul_f32_e32 v178, 0x3f3d2fb0, v131
	v_dual_sub_f32 v175, v175, v179 :: v_dual_mul_f32 v184, 0xbf59a7d5, v109
	s_delay_alu instid0(VALU_DEP_4) | instskip(NEXT) | instid1(VALU_DEP_3)
	v_dual_add_f32 v180, v188, v180 :: v_dual_mul_f32 v109, 0xbe8c1d8e, v109
	v_add_f32_e32 v178, v191, v178
	s_delay_alu instid0(VALU_DEP_3) | instskip(SKIP_1) | instid1(VALU_DEP_4)
	v_dual_add_f32 v172, v175, v172 :: v_dual_add_f32 v165, v165, v21
	v_mul_f32_e32 v175, 0xbe8c1d8e, v135
	v_add_f32_e32 v109, v166, v109
	v_mul_f32_e32 v179, 0x3ee437d1, v117
	v_mul_f32_e32 v191, 0xbf1a4643, v115
	s_delay_alu instid0(VALU_DEP_4) | instskip(SKIP_4) | instid1(VALU_DEP_4)
	v_dual_mul_f32 v214, 0x3ee437d1, v122 :: v_dual_add_f32 v175, v199, v175
	v_mul_f32_e32 v199, 0xbf1a4643, v123
	v_mul_f32_e32 v192, 0xbf7ba420, v106
	v_sub_f32_e32 v60, v207, v60
	v_add_f32_e32 v148, v148, v210
	v_dual_add_f32 v58, v58, v206 :: v_dual_add_f32 v195, v195, v199
	v_mul_f32_e32 v199, 0x3ee437d1, v128
	v_sub_f32_e32 v80, v192, v80
	v_dual_add_f32 v66, v66, v203 :: v_dual_add_f32 v23, v23, v21
	s_delay_alu instid0(VALU_DEP_3)
	v_dual_add_f32 v195, v195, v200 :: v_dual_add_f32 v196, v196, v199
	v_mul_f32_e32 v176, 0xbe8c1d8e, v106
	v_mul_f32_e32 v199, 0x3f3d2fb0, v117
	v_add_f32_e32 v109, v109, v165
	v_mul_f32_e32 v165, 0x3ee437d1, v120
	v_dual_add_f32 v195, v196, v195 :: v_dual_mul_f32 v106, 0x3f6eb680, v106
	v_sub_f32_e32 v157, v176, v157
	s_delay_alu instid0(VALU_DEP_3) | instskip(NEXT) | instid1(VALU_DEP_3)
	v_dual_add_f32 v51, v51, v171 :: v_dual_add_f32 v144, v144, v165
	v_dual_mul_f32 v213, 0x3ee437d1, v131 :: v_dual_sub_f32 v106, v106, v185
	v_mul_f32_e32 v185, 0xbe8c1d8e, v131
	v_sub_f32_e32 v137, v182, v137
	v_sub_f32_e32 v59, v201, v59
	v_mul_f32_e32 v165, 0x3f6eb680, v133
	v_dual_add_f32 v106, v106, v177 :: v_dual_mul_f32 v177, 0x3dbcf732, v135
	v_dual_mul_f32 v188, 0x3ee437d1, v115 :: v_dual_add_f32 v185, v197, v185
	v_dual_mul_f32 v197, 0x3dbcf732, v120 :: v_dual_add_f32 v174, v180, v174
	s_delay_alu instid0(VALU_DEP_3) | instskip(NEXT) | instid1(VALU_DEP_3)
	v_dual_add_f32 v177, v198, v177 :: v_dual_mul_f32 v198, 0x3f3d2fb0, v119
	v_dual_mul_f32 v180, 0x3f3d2fb0, v130 :: v_dual_add_f32 v185, v185, v195
	s_delay_alu instid0(VALU_DEP_3) | instskip(NEXT) | instid1(VALU_DEP_3)
	v_dual_mul_f32 v195, 0xbf7ba420, v120 :: v_dual_add_f32 v174, v178, v174
	v_dual_mul_f32 v178, 0xbe8c1d8e, v133 :: v_dual_sub_f32 v187, v198, v187
	s_delay_alu instid0(VALU_DEP_3) | instskip(SKIP_1) | instid1(VALU_DEP_3)
	v_sub_f32_e32 v180, v180, v181
	v_dual_mul_f32 v198, 0xbf1a4643, v122 :: v_dual_mul_f32 v181, 0xbf1a4643, v117
	v_sub_f32_e32 v178, v178, v194
	v_mul_f32_e32 v194, 0xbf7ba420, v117
	s_delay_alu instid0(VALU_DEP_3) | instskip(SKIP_2) | instid1(VALU_DEP_3)
	v_dual_add_f32 v172, v180, v172 :: v_dual_sub_f32 v189, v198, v189
	v_add_f32_e32 v175, v175, v174
	v_add_f32_e32 v83, v83, v183
	v_dual_mul_f32 v209, 0xbf59a7d5, v135 :: v_dual_add_f32 v174, v178, v172
	v_mul_f32_e32 v178, 0xbe8c1d8e, v117
	v_mul_f32_e32 v117, 0x3f6eb680, v117
	v_dual_mul_f32 v180, 0xbf7ba420, v115 :: v_dual_add_f32 v51, v51, v21
	v_add_f32_e32 v57, v57, v204
	s_delay_alu instid0(VALU_DEP_3)
	v_dual_add_f32 v64, v64, v208 :: v_dual_add_f32 v117, v167, v117
	v_mul_f32_e32 v172, 0xbe8c1d8e, v115
	v_mul_f32_e32 v167, 0x3ee437d1, v126
	v_add_f32_e32 v23, v33, v23
	v_add_f32_e32 v51, v57, v51
	;; [unrolled: 1-line block ×3, first 2 shown]
	v_mul_f32_e32 v117, 0xbe8c1d8e, v130
	v_mul_f32_e32 v200, 0x3f3d2fb0, v115
	;; [unrolled: 1-line block ×3, first 2 shown]
	v_dual_sub_f32 v167, v167, v190 :: v_dual_mul_f32 v190, 0xbe8c1d8e, v123
	s_delay_alu instid0(VALU_DEP_4) | instskip(SKIP_1) | instid1(VALU_DEP_4)
	v_sub_f32_e32 v117, v117, v193
	v_mul_f32_e32 v193, 0xbf59a7d5, v123
	v_sub_f32_e32 v115, v115, v186
	v_add_f32_e32 v149, v149, v184
	v_add_f32_e32 v60, v60, v20
	v_dual_mul_f32 v184, 0x3ee437d1, v130 :: v_dual_sub_f32 v53, v205, v53
	s_delay_alu instid0(VALU_DEP_4) | instskip(NEXT) | instid1(VALU_DEP_3)
	v_dual_add_f32 v106, v115, v106 :: v_dual_mul_f32 v115, 0xbe8c1d8e, v119
	v_add_f32_e32 v60, v80, v60
	v_sub_f32_e32 v80, v172, v81
	s_delay_alu instid0(VALU_DEP_3) | instskip(SKIP_2) | instid1(VALU_DEP_3)
	v_dual_add_f32 v57, v62, v181 :: v_dual_add_f32 v106, v187, v106
	v_dual_mul_f32 v187, 0x3f6eb680, v120 :: v_dual_add_f32 v64, v64, v21
	v_sub_f32_e32 v49, v162, v49
	v_add_f32_e32 v51, v57, v51
	s_delay_alu instid0(VALU_DEP_4) | instskip(NEXT) | instid1(VALU_DEP_4)
	v_add_f32_e32 v106, v189, v106
	v_dual_mul_f32 v189, 0xbe8c1d8e, v122 :: v_dual_add_f32 v64, v83, v64
	v_add_f32_e32 v57, v77, v195
	v_add_f32_e32 v83, v96, v178
	s_delay_alu instid0(VALU_DEP_4) | instskip(SKIP_2) | instid1(VALU_DEP_4)
	v_dual_add_f32 v106, v167, v106 :: v_dual_mul_f32 v167, 0x3dbcf732, v123
	v_mul_f32_e32 v212, 0xbe8c1d8e, v120
	v_mul_f32_e32 v120, 0xbf59a7d5, v120
	v_dual_add_f32 v64, v83, v64 :: v_dual_add_f32 v51, v57, v51
	s_delay_alu instid0(VALU_DEP_4) | instskip(NEXT) | instid1(VALU_DEP_3)
	v_add_f32_e32 v167, v169, v167
	v_dual_mul_f32 v169, 0x3f3d2fb0, v123 :: v_dual_add_f32 v120, v168, v120
	v_dual_add_f32 v117, v117, v106 :: v_dual_sub_f32 v106, v211, v155
	v_mul_f32_e32 v155, 0x3ee437d1, v123
	v_mul_f32_e32 v123, 0xbf7ba420, v123
	s_delay_alu instid0(VALU_DEP_4) | instskip(SKIP_2) | instid1(VALU_DEP_4)
	v_dual_mul_f32 v196, 0x3dbcf732, v119 :: v_dual_add_f32 v109, v120, v109
	v_mul_f32_e32 v186, 0xbf7ba420, v119
	v_mul_f32_e32 v211, 0xbf1a4643, v128
	v_dual_add_f32 v123, v146, v123 :: v_dual_mul_f32 v146, 0x3f3d2fb0, v133
	s_delay_alu instid0(VALU_DEP_4)
	v_add_f32_e32 v109, v167, v109
	v_mul_f32_e32 v167, 0x3f3d2fb0, v128
	v_mul_f32_e32 v182, 0xbf7ba420, v133
	v_add_f32_e32 v57, v85, v193
	v_add_f32_e32 v83, v98, v187
	;; [unrolled: 1-line block ×4, first 2 shown]
	v_dual_mul_f32 v167, 0xbf1a4643, v126 :: v_dual_add_f32 v106, v106, v20
	v_mul_f32_e32 v166, 0x3f6eb680, v119
	s_delay_alu instid0(VALU_DEP_3) | instskip(SKIP_1) | instid1(VALU_DEP_4)
	v_dual_sub_f32 v54, v202, v54 :: v_dual_add_f32 v109, v163, v109
	v_mul_f32_e32 v163, 0xbe8c1d8e, v126
	v_dual_add_f32 v106, v157, v106 :: v_dual_mul_f32 v157, 0xbf7ba420, v131
	v_mul_f32_e32 v198, 0x3ee437d1, v119
	v_dual_mul_f32 v119, 0xbf59a7d5, v119 :: v_dual_mul_f32 v168, 0xbf59a7d5, v122
	v_dual_add_f32 v64, v83, v64 :: v_dual_add_f32 v51, v57, v51
	s_delay_alu instid0(VALU_DEP_4) | instskip(NEXT) | instid1(VALU_DEP_3)
	v_dual_add_f32 v157, v164, v157 :: v_dual_mul_f32 v120, 0x3f3d2fb0, v122
	v_dual_mul_f32 v164, 0x3dbcf732, v133 :: v_dual_sub_f32 v119, v119, v160
	s_delay_alu instid0(VALU_DEP_2)
	v_dual_mul_f32 v160, 0x3f6eb680, v126 :: v_dual_add_f32 v109, v157, v109
	v_mul_f32_e32 v157, 0x3ee437d1, v135
	v_mul_f32_e32 v176, 0xbf7ba420, v122
	;; [unrolled: 1-line block ×3, first 2 shown]
	v_dual_sub_f32 v164, v164, v173 :: v_dual_mul_f32 v173, 0x3f6eb680, v128
	v_add_f32_e32 v106, v158, v106
	v_add_f32_e32 v157, v170, v157
	s_delay_alu instid0(VALU_DEP_4)
	v_dual_sub_f32 v122, v122, v161 :: v_dual_mul_f32 v161, 0xbf59a7d5, v128
	v_mul_f32_e32 v170, 0x3dbcf732, v126
	v_add_f32_e32 v136, v136, v20
	v_add_f32_e32 v106, v119, v106
	v_mul_f32_e32 v119, 0xbf59a7d5, v126
	v_dual_mul_f32 v126, 0x3f3d2fb0, v126 :: v_dual_add_f32 v109, v157, v109
	v_dual_sub_f32 v138, v200, v138 :: v_dual_add_f32 v81, v118, v161
	v_add_f32_e32 v136, v137, v136
	v_mul_f32_e32 v158, 0xbe8c1d8e, v128
	v_mul_f32_e32 v128, 0x3dbcf732, v128
	v_add_f32_e32 v106, v122, v106
	v_dual_sub_f32 v126, v126, v156 :: v_dual_mul_f32 v137, 0x3f6eb680, v135
	v_add_f32_e32 v148, v148, v21
	v_add_f32_e32 v136, v138, v136
	v_sub_f32_e32 v140, v198, v140
	v_add_f32_e32 v128, v145, v128
	v_mul_f32_e32 v200, 0xbf59a7d5, v133
	v_dual_mul_f32 v122, 0xbf59a7d5, v130 :: v_dual_add_f32 v83, v111, v155
	s_delay_alu instid0(VALU_DEP_4)
	v_add_f32_e32 v136, v140, v136
	v_sub_f32_e32 v140, v176, v141
	v_add_f32_e32 v126, v126, v106
	v_dual_add_f32 v106, v149, v148 :: v_dual_add_f32 v149, v150, v199
	v_dual_add_f32 v58, v58, v21 :: v_dual_add_f32 v57, v100, v158
	v_mul_f32_e32 v199, 0xbf1a4643, v131
	v_mul_f32_e32 v148, 0x3dbcf732, v131
	s_delay_alu instid0(VALU_DEP_4) | instskip(NEXT) | instid1(VALU_DEP_4)
	v_add_f32_e32 v106, v149, v106
	v_add_f32_e32 v58, v66, v58
	s_delay_alu instid0(VALU_DEP_4) | instskip(NEXT) | instid1(VALU_DEP_3)
	v_dual_add_f32 v66, v79, v194 :: v_dual_add_f32 v79, v132, v199
	v_dual_mul_f32 v149, 0xbf7ba420, v135 :: v_dual_add_f32 v144, v144, v106
	v_mul_f32_e32 v210, 0xbf59a7d5, v131
	s_delay_alu instid0(VALU_DEP_3) | instskip(SKIP_1) | instid1(VALU_DEP_4)
	v_add_f32_e32 v58, v66, v58
	v_dual_add_f32 v66, v93, v212 :: v_dual_mul_f32 v131, 0x3f6eb680, v131
	v_add_f32_e32 v123, v123, v144
	v_add_f32_e32 v22, v22, v20
	;; [unrolled: 1-line block ×3, first 2 shown]
	s_delay_alu instid0(VALU_DEP_4) | instskip(SKIP_1) | instid1(VALU_DEP_4)
	v_add_f32_e32 v58, v66, v58
	v_dual_add_f32 v66, v104, v169 :: v_dual_add_f32 v51, v57, v51
	v_dual_add_f32 v22, v32, v22 :: v_dual_add_f32 v57, v102, v213
	s_delay_alu instid0(VALU_DEP_4) | instskip(NEXT) | instid1(VALU_DEP_3)
	v_dual_add_f32 v64, v81, v64 :: v_dual_add_f32 v23, v35, v23
	v_add_f32_e32 v58, v66, v58
	v_add_f32_e32 v66, v110, v173
	s_delay_alu instid0(VALU_DEP_4) | instskip(NEXT) | instid1(VALU_DEP_4)
	v_add_f32_e32 v22, v34, v22
	v_add_f32_e32 v64, v79, v64
	v_mul_f32_e32 v138, 0x3f3d2fb0, v135
	s_delay_alu instid0(VALU_DEP_4) | instskip(SKIP_4) | instid1(VALU_DEP_3)
	v_dual_mul_f32 v135, 0xbf1a4643, v135 :: v_dual_add_f32 v58, v66, v58
	v_dual_sub_f32 v66, v180, v67 :: v_dual_sub_f32 v67, v146, v129
	v_dual_mul_f32 v156, 0xbf7ba420, v130 :: v_dual_add_f32 v123, v128, v123
	v_mul_f32_e32 v198, 0xbf1a4643, v133
	v_dual_mul_f32 v133, 0x3ee437d1, v133 :: v_dual_add_f32 v128, v143, v131
	v_sub_f32_e32 v156, v156, v159
	v_add_f32_e32 v131, v140, v136
	v_mul_f32_e32 v159, 0x3dbcf732, v130
	s_delay_alu instid0(VALU_DEP_4) | instskip(NEXT) | instid1(VALU_DEP_4)
	v_dual_sub_f32 v133, v133, v154 :: v_dual_sub_f32 v136, v170, v139
	v_add_f32_e32 v126, v156, v126
	v_mul_f32_e32 v150, 0xbf1a4643, v130
	v_mul_f32_e32 v130, 0x3f6eb680, v130
	v_add_f32_e32 v28, v28, v22
	v_add_f32_e32 v123, v128, v123
	v_dual_add_f32 v128, v152, v135 :: v_dual_add_f32 v49, v54, v49
	v_sub_f32_e32 v54, v191, v61
	s_delay_alu instid0(VALU_DEP_4) | instskip(SKIP_2) | instid1(VALU_DEP_3)
	v_dual_add_f32 v28, v30, v28 :: v_dual_add_f32 v23, v29, v23
	v_add_f32_e32 v33, v57, v51
	v_add_f32_e32 v51, v108, v137
	v_dual_add_f32 v49, v54, v49 :: v_dual_add_f32 v24, v24, v28
	v_sub_f32_e32 v54, v186, v75
	v_add_f32_e32 v23, v31, v23
	v_sub_f32_e32 v31, v151, v45
	v_sub_f32_e32 v34, v184, v97
	v_add_f32_e32 v24, v26, v24
	v_dual_add_f32 v49, v54, v49 :: v_dual_sub_f32 v54, v168, v84
	v_add_f32_e32 v60, v80, v60
	v_sub_f32_e32 v80, v166, v95
	s_delay_alu instid0(VALU_DEP_4) | instskip(NEXT) | instid1(VALU_DEP_4)
	v_dual_add_f32 v8, v8, v24 :: v_dual_add_f32 v23, v25, v23
	v_add_f32_e32 v49, v54, v49
	v_sub_f32_e32 v79, v119, v116
	s_delay_alu instid0(VALU_DEP_4) | instskip(NEXT) | instid1(VALU_DEP_4)
	v_add_f32_e32 v60, v80, v60
	v_add_f32_e32 v8, v10, v8
	v_sub_f32_e32 v80, v214, v107
	v_add_f32_e32 v23, v27, v23
	v_add_f32_e32 v131, v136, v131
	v_add_f32_e32 v81, v53, v20
	v_add_f32_e32 v4, v4, v8
	v_add_f32_e32 v60, v80, v60
	v_dual_add_f32 v80, v134, v138 :: v_dual_add_f32 v9, v9, v23
	s_delay_alu instid0(VALU_DEP_3) | instskip(SKIP_1) | instid1(VALU_DEP_3)
	v_dual_add_f32 v25, v48, v113 :: v_dual_add_f32 v4, v6, v4
	v_add_f32_e32 v20, v31, v20
	v_dual_sub_f32 v28, v112, v47 :: v_dual_add_f32 v9, v11, v9
	s_delay_alu instid0(VALU_DEP_3) | instskip(SKIP_1) | instid1(VALU_DEP_3)
	v_dual_add_f32 v59, v59, v81 :: v_dual_add_f32 v4, v12, v4
	v_sub_f32_e32 v23, v188, v50
	v_dual_add_f32 v20, v28, v20 :: v_dual_add_f32 v5, v5, v9
	s_delay_alu instid0(VALU_DEP_3) | instskip(NEXT) | instid1(VALU_DEP_4)
	v_add_f32_e32 v59, v66, v59
	v_add_f32_e32 v4, v14, v4
	v_dual_sub_f32 v66, v115, v82 :: v_dual_sub_f32 v11, v196, v55
	v_add_f32_e32 v24, v56, v197
	v_add_f32_e32 v10, v23, v20
	s_delay_alu instid0(VALU_DEP_4) | instskip(SKIP_2) | instid1(VALU_DEP_4)
	v_add_f32_e32 v4, v16, v4
	v_sub_f32_e32 v32, v163, v86
	v_dual_add_f32 v5, v7, v5 :: v_dual_add_f32 v8, v65, v190
	v_add_f32_e32 v9, v11, v10
	s_delay_alu instid0(VALU_DEP_3) | instskip(SKIP_1) | instid1(VALU_DEP_4)
	v_dual_add_f32 v11, v18, v4 :: v_dual_add_f32 v32, v32, v49
	v_sub_f32_e32 v10, v189, v63
	v_add_f32_e32 v5, v13, v5
	v_dual_add_f32 v106, v177, v185 :: v_dual_add_f32 v59, v66, v59
	s_delay_alu instid0(VALU_DEP_4) | instskip(SKIP_1) | instid1(VALU_DEP_4)
	v_add_f32_e32 v29, v34, v32
	v_add_f32_e32 v32, v46, v153
	v_dual_sub_f32 v62, v160, v103 :: v_dual_add_f32 v5, v15, v5
	v_add_f32_e32 v7, v78, v211
	v_dual_add_f32 v96, v128, v123 :: v_dual_sub_f32 v61, v159, v114
	s_delay_alu instid0(VALU_DEP_4) | instskip(SKIP_3) | instid1(VALU_DEP_4)
	v_dual_add_f32 v21, v32, v21 :: v_dual_add_f32 v60, v79, v60
	v_sub_f32_e32 v79, v150, v127
	v_add_f32_e32 v53, v80, v64
	v_add_f32_e32 v64, v125, v148
	;; [unrolled: 1-line block ×3, first 2 shown]
	s_delay_alu instid0(VALU_DEP_4) | instskip(SKIP_1) | instid1(VALU_DEP_2)
	v_dual_add_f32 v25, v52, v179 :: v_dual_add_f32 v60, v79, v60
	v_dual_add_f32 v5, v17, v5 :: v_dual_and_b32 v12, 0xffff, v92
	v_dual_sub_f32 v98, v198, v147 :: v_dual_add_f32 v21, v25, v21
	v_add_f32_e32 v58, v64, v58
	v_add_f32_e32 v64, v124, v209
	v_sub_f32_e32 v30, v165, v105
	v_add_f32_e32 v22, v51, v33
	v_add_f32_e32 v20, v24, v21
	;; [unrolled: 1-line block ×4, first 2 shown]
	v_sub_f32_e32 v64, v120, v94
	v_sub_f32_e32 v130, v130, v142
	v_add_f32_e32 v6, v8, v20
	v_dual_add_f32 v8, v10, v9 :: v_dual_sub_f32 v9, v167, v76
	s_delay_alu instid0(VALU_DEP_4) | instskip(NEXT) | instid1(VALU_DEP_3)
	v_dual_add_f32 v59, v64, v59 :: v_dual_add_f32 v10, v19, v5
	v_add_f32_e32 v6, v7, v6
	s_delay_alu instid0(VALU_DEP_3) | instskip(SKIP_1) | instid1(VALU_DEP_4)
	v_dual_add_f32 v7, v88, v210 :: v_dual_add_f32 v8, v9, v8
	v_sub_f32_e32 v9, v122, v87
	v_add_f32_e32 v59, v62, v59
	s_delay_alu instid0(VALU_DEP_3) | instskip(SKIP_1) | instid1(VALU_DEP_4)
	v_dual_add_f32 v123, v130, v131 :: v_dual_add_f32 v6, v7, v6
	v_add_f32_e32 v7, v101, v149
	v_dual_add_f32 v8, v9, v8 :: v_dual_sub_f32 v9, v182, v99
	s_delay_alu instid0(VALU_DEP_4) | instskip(SKIP_1) | instid1(VALU_DEP_4)
	v_add_f32_e32 v59, v61, v59
	v_sub_f32_e32 v61, v200, v121
	v_add_f32_e32 v5, v7, v6
	v_add_f32_e32 v7, v37, v10
	;; [unrolled: 1-line block ×4, first 2 shown]
	v_add_lshl_u32 v8, v44, v12, 3
	v_add_f32_e32 v57, v61, v59
	v_add_f32_e32 v21, v30, v29
	v_dual_add_f32 v95, v98, v123 :: v_dual_add_f32 v108, v133, v126
	v_add_f32_e32 v105, v164, v117
	ds_store_2addr_b64 v8, v[6:7], v[4:5] offset1:1
	ds_store_2addr_b64 v8, v[21:22], v[57:58] offset0:2 offset1:3
	ds_store_2addr_b64 v8, v[52:53], v[95:96] offset0:4 offset1:5
	;; [unrolled: 1-line block ×7, first 2 shown]
	ds_store_b64 v8, v[2:3] offset:128
.LBB0_7:
	s_wait_alu 0xfffe
	s_or_b32 exec_lo, exec_lo, s0
	v_add_lshl_u32 v94, v44, v90, 3
	global_wb scope:SCOPE_SE
	s_wait_dscnt 0x0
	s_barrier_signal -1
	s_barrier_wait -1
	global_inv scope:SCOPE_SE
	v_add_nc_u32_e32 v5, 0x800, v94
	v_add_nc_u32_e32 v4, 0x400, v94
	v_cmp_gt_u16_e64 s0, 34, v90
	ds_load_2addr_b64 v[20:23], v94 offset1:51
	ds_load_2addr_b64 v[12:15], v94 offset0:102 offset1:187
	ds_load_2addr_b64 v[32:35], v5 offset0:118 offset1:169
	;; [unrolled: 1-line block ×3, first 2 shown]
	ds_load_b64 v[36:37], v94 offset:3808
	s_and_saveexec_b32 s1, s0
	s_cbranch_execz .LBB0_9
; %bb.8:
	ds_load_2addr_b64 v[4:7], v4 offset0:25 offset1:212
	ds_load_b64 v[38:39], v94 offset:4216
	s_wait_dscnt 0x1
	v_dual_mov_b32 v42, v4 :: v_dual_mov_b32 v43, v5
	v_dual_mov_b32 v40, v6 :: v_dual_mov_b32 v41, v7
.LBB0_9:
	s_wait_alu 0xfffe
	s_or_b32 exec_lo, exec_lo, s1
	v_and_b32_e32 v4, 0xff, v90
	v_add_nc_u16 v5, v90, 51
	v_add_nc_u16 v6, v90, 0x66
	s_delay_alu instid0(VALU_DEP_3) | instskip(NEXT) | instid1(VALU_DEP_3)
	v_mul_lo_u16 v4, 0xf1, v4
	v_and_b32_e32 v7, 0xff, v5
	s_delay_alu instid0(VALU_DEP_3) | instskip(NEXT) | instid1(VALU_DEP_3)
	v_and_b32_e32 v8, 0xff, v6
	v_lshrrev_b16 v45, 12, v4
	v_add_nc_u16 v4, v90, 0x99
	s_delay_alu instid0(VALU_DEP_4) | instskip(NEXT) | instid1(VALU_DEP_4)
	v_mul_lo_u16 v7, 0xf1, v7
	v_mul_lo_u16 v8, 0xf1, v8
	s_delay_alu instid0(VALU_DEP_4) | instskip(NEXT) | instid1(VALU_DEP_4)
	v_mul_lo_u16 v9, v45, 17
	v_and_b32_e32 v10, 0xff, v4
	s_delay_alu instid0(VALU_DEP_4) | instskip(NEXT) | instid1(VALU_DEP_4)
	v_lshrrev_b16 v46, 12, v7
	v_lshrrev_b16 v48, 12, v8
	s_delay_alu instid0(VALU_DEP_4) | instskip(NEXT) | instid1(VALU_DEP_4)
	v_sub_nc_u16 v47, v90, v9
	v_mul_lo_u16 v7, 0xf1, v10
	s_delay_alu instid0(VALU_DEP_4) | instskip(NEXT) | instid1(VALU_DEP_3)
	v_mul_lo_u16 v8, v46, 17
	v_lshlrev_b16 v9, 1, v47
	s_delay_alu instid0(VALU_DEP_3) | instskip(SKIP_1) | instid1(VALU_DEP_4)
	v_lshrrev_b16 v49, 12, v7
	v_mul_lo_u16 v7, v48, 17
	v_sub_nc_u16 v5, v5, v8
	v_mad_u16 v45, v45, 51, v47
	v_and_b32_e32 v8, 0xfe, v9
	v_mul_lo_u16 v9, v49, 17
	v_sub_nc_u16 v6, v6, v7
	v_and_b32_e32 v50, 0xff, v5
	s_delay_alu instid0(VALU_DEP_4) | instskip(NEXT) | instid1(VALU_DEP_4)
	v_lshlrev_b32_e32 v5, 3, v8
	v_sub_nc_u16 v4, v4, v9
	s_delay_alu instid0(VALU_DEP_4) | instskip(NEXT) | instid1(VALU_DEP_4)
	v_and_b32_e32 v51, 0xff, v6
	v_lshlrev_b32_e32 v6, 4, v50
	s_clause 0x1
	global_load_b128 v[24:27], v5, s[2:3]
	global_load_b128 v[16:19], v6, s[2:3]
	s_wait_loadcnt_dscnt 0x2
	v_dual_mul_f32 v54, v34, v19 :: v_dual_and_b32 v95, 0xff, v4
	s_wait_dscnt 0x1
	v_mul_f32_e32 v52, v28, v17
	v_lshlrev_b32_e32 v4, 4, v51
	s_delay_alu instid0(VALU_DEP_3)
	v_lshlrev_b32_e32 v5, 4, v95
	s_clause 0x1
	global_load_b128 v[8:11], v4, s[2:3]
	global_load_b128 v[4:7], v5, s[2:3]
	v_and_b32_e32 v46, 0xffff, v46
	v_and_b32_e32 v47, 0xffff, v48
	;; [unrolled: 1-line block ×3, first 2 shown]
	v_mul_f32_e32 v48, v14, v25
	v_fmac_f32_e32 v54, v35, v18
	v_mul_u32_u24_e32 v46, 51, v46
	v_mul_f32_e32 v53, v35, v19
	s_load_b128 s[4:7], s[4:5], 0x0
	global_wb scope:SCOPE_SE
	s_wait_loadcnt_dscnt 0x0
	s_wait_kmcnt 0x0
	s_barrier_signal -1
	s_barrier_wait -1
	v_fma_f32 v34, v34, v18, -v53
	global_inv scope:SCOPE_SE
	v_mul_f32_e32 v57, v37, v11
	v_mul_f32_e32 v58, v36, v11
	v_mul_u32_u24_e32 v47, 51, v47
	v_mul_f32_e32 v60, v39, v7
	v_add_lshl_u32 v99, v44, v45, 3
	v_dual_mul_f32 v50, v32, v27 :: v_dual_add_nc_u32 v45, v46, v50
	v_mul_f32_e32 v55, v31, v9
	v_mul_f32_e32 v59, v41, v5
	;; [unrolled: 1-line block ×3, first 2 shown]
	v_fma_f32 v36, v36, v10, -v57
	v_fmac_f32_e32 v50, v33, v26
	v_fmac_f32_e32 v52, v29, v16
	;; [unrolled: 1-line block ×3, first 2 shown]
	v_add_nc_u32_e32 v46, v47, v51
	v_mul_f32_e32 v47, v15, v25
	v_mul_f32_e32 v51, v29, v17
	v_fma_f32 v29, v30, v8, -v55
	v_fma_f32 v15, v40, v4, -v59
	v_add_lshl_u32 v97, v44, v46, 3
	v_mul_f32_e32 v46, v40, v5
	v_add_lshl_u32 v98, v44, v45, 3
	v_dual_mul_f32 v45, v38, v7 :: v_dual_and_b32 v96, 0xffff, v49
	v_mul_f32_e32 v49, v33, v27
	v_fma_f32 v47, v14, v24, -v47
	v_fma_f32 v28, v28, v16, -v51
	s_delay_alu instid0(VALU_DEP_4)
	v_dual_fmac_f32 v45, v39, v6 :: v_dual_fmac_f32 v46, v41, v4
	v_add_f32_e32 v51, v12, v29
	v_fma_f32 v32, v32, v26, -v49
	v_fma_f32 v14, v38, v6, -v60
	v_dual_fmac_f32 v56, v31, v8 :: v_dual_sub_f32 v49, v28, v34
	v_dual_fmac_f32 v58, v37, v10 :: v_dual_add_f32 v37, v22, v28
	s_delay_alu instid0(VALU_DEP_4) | instskip(SKIP_1) | instid1(VALU_DEP_4)
	v_add_f32_e32 v31, v47, v32
	v_sub_f32_e32 v40, v47, v32
	v_dual_add_f32 v38, v28, v34 :: v_dual_add_f32 v55, v13, v56
	v_sub_f32_e32 v41, v52, v54
	v_sub_f32_e32 v39, v48, v50
	v_add_f32_e32 v33, v21, v48
	v_add_f32_e32 v35, v48, v50
	v_dual_add_f32 v30, v20, v47 :: v_dual_add_f32 v47, v23, v52
	v_dual_add_f32 v48, v52, v54 :: v_dual_sub_f32 v57, v29, v36
	v_dual_add_f32 v52, v29, v36 :: v_dual_add_f32 v59, v15, v14
	v_dual_add_f32 v60, v46, v45 :: v_dual_sub_f32 v53, v56, v58
	s_delay_alu instid0(VALU_DEP_3)
	v_dual_add_f32 v56, v56, v58 :: v_dual_fmac_f32 v23, -0.5, v48
	v_dual_sub_f32 v28, v46, v45 :: v_dual_sub_f32 v29, v15, v14
	v_add_f32_e32 v30, v30, v32
	v_fma_f32 v32, -0.5, v31, v20
	v_add_f32_e32 v31, v33, v50
	v_fma_f32 v33, -0.5, v35, v21
	;; [unrolled: 2-line block ×3, first 2 shown]
	v_fma_f32 v20, -0.5, v59, v42
	v_fma_f32 v21, -0.5, v60, v43
	v_dual_add_f32 v34, v37, v34 :: v_dual_fmac_f32 v13, -0.5, v56
	v_fma_f32 v12, -0.5, v52, v12
	v_add_f32_e32 v36, v51, v36
	v_add_f32_e32 v37, v55, v58
	v_fmamk_f32 v38, v39, 0x3f5db3d7, v32
	v_dual_fmac_f32 v32, 0xbf5db3d7, v39 :: v_dual_fmamk_f32 v39, v40, 0xbf5db3d7, v33
	v_fmac_f32_e32 v33, 0x3f5db3d7, v40
	v_fmamk_f32 v47, v41, 0x3f5db3d7, v22
	v_fmac_f32_e32 v22, 0xbf5db3d7, v41
	v_fmamk_f32 v40, v28, 0xbf5db3d7, v20
	v_fmamk_f32 v41, v29, 0x3f5db3d7, v21
	;; [unrolled: 1-line block ×3, first 2 shown]
	v_fmac_f32_e32 v23, 0x3f5db3d7, v49
	v_fmamk_f32 v49, v53, 0x3f5db3d7, v12
	v_fmamk_f32 v50, v57, 0xbf5db3d7, v13
	v_fmac_f32_e32 v12, 0xbf5db3d7, v53
	v_fmac_f32_e32 v13, 0x3f5db3d7, v57
	ds_store_2addr_b64 v99, v[30:31], v[38:39] offset1:17
	ds_store_b64 v99, v[32:33] offset:272
	ds_store_2addr_b64 v98, v[34:35], v[47:48] offset1:17
	ds_store_b64 v98, v[22:23] offset:272
	;; [unrolled: 2-line block ×3, first 2 shown]
	s_and_saveexec_b32 s1, s0
	s_cbranch_execz .LBB0_11
; %bb.10:
	v_mul_u32_u24_e32 v12, 51, v96
	v_dual_mul_f32 v13, 0x3f5db3d7, v29 :: v_dual_add_f32 v22, v43, v46
	v_dual_mul_f32 v23, 0x3f5db3d7, v28 :: v_dual_add_f32 v28, v42, v15
	s_delay_alu instid0(VALU_DEP_3) | instskip(NEXT) | instid1(VALU_DEP_3)
	v_add_nc_u32_e32 v29, v12, v95
	v_sub_f32_e32 v13, v21, v13
	s_delay_alu instid0(VALU_DEP_3) | instskip(NEXT) | instid1(VALU_DEP_4)
	v_dual_add_f32 v15, v22, v45 :: v_dual_add_f32 v12, v23, v20
	v_add_f32_e32 v14, v28, v14
	s_delay_alu instid0(VALU_DEP_4)
	v_add_lshl_u32 v20, v44, v29, 3
	ds_store_2addr_b64 v20, v[14:15], v[12:13] offset1:17
	ds_store_b64 v20, v[40:41] offset:272
.LBB0_11:
	s_wait_alu 0xfffe
	s_or_b32 exec_lo, exec_lo, s1
	v_mad_co_u64_u32 v[28:29], null, 0x50, v90, s[2:3]
	global_wb scope:SCOPE_SE
	s_wait_dscnt 0x0
	s_barrier_signal -1
	s_barrier_wait -1
	global_inv scope:SCOPE_SE
	v_lshl_add_u32 v93, v90, 3, v91
	s_clause 0x4
	global_load_b128 v[36:39], v[28:29], off offset:272
	global_load_b128 v[32:35], v[28:29], off offset:288
	global_load_b128 v[20:23], v[28:29], off offset:304
	global_load_b128 v[12:15], v[28:29], off offset:320
	global_load_b128 v[28:31], v[28:29], off offset:336
	ds_load_2addr_b64 v[42:45], v94 offset1:51
	ds_load_b64 v[62:63], v94 offset:816
	v_add_nc_u32_e32 v50, 0x400, v94
	v_add_nc_u32_e32 v58, 0x800, v94
	ds_load_2addr_b64 v[46:49], v94 offset0:153 offset1:204
	v_add_nc_u32_e32 v64, 0x400, v93
	s_wait_loadcnt_dscnt 0x401
	v_dual_mul_f32 v76, v62, v39 :: v_dual_add_nc_u32 v65, 0x800, v93
	v_mul_f32_e32 v67, v44, v37
	v_mul_f32_e32 v75, v63, v39
	ds_load_2addr_b64 v[50:53], v50 offset0:127 offset1:178
	ds_load_2addr_b64 v[54:57], v58 offset0:101 offset1:152
	;; [unrolled: 1-line block ×3, first 2 shown]
	v_mul_f32_e32 v66, v45, v37
	s_wait_loadcnt_dscnt 0x303
	v_dual_mul_f32 v77, v47, v33 :: v_dual_mul_f32 v80, v48, v35
	v_dual_mul_f32 v78, v46, v33 :: v_dual_mul_f32 v79, v49, v35
	v_fmac_f32_e32 v67, v45, v36
	v_fma_f32 v45, v62, v38, -v75
	s_delay_alu instid0(VALU_DEP_4)
	v_fma_f32 v46, v46, v32, -v77
	s_wait_loadcnt_dscnt 0x202
	v_mul_f32_e32 v83, v53, v23
	v_dual_mul_f32 v81, v51, v21 :: v_dual_mul_f32 v84, v52, v23
	s_wait_loadcnt_dscnt 0x101
	v_dual_mul_f32 v82, v50, v21 :: v_dual_mul_f32 v87, v57, v15
	v_dual_mul_f32 v85, v55, v13 :: v_dual_mul_f32 v88, v56, v15
	v_mul_f32_e32 v86, v54, v13
	s_wait_loadcnt_dscnt 0x0
	v_dual_mul_f32 v101, v58, v29 :: v_dual_mul_f32 v102, v61, v31
	v_dual_mul_f32 v103, v60, v31 :: v_dual_mul_f32 v100, v59, v29
	v_fma_f32 v44, v44, v36, -v66
	s_delay_alu instid0(VALU_DEP_3)
	v_dual_fmac_f32 v80, v49, v34 :: v_dual_fmac_f32 v101, v59, v28
	v_fmac_f32_e32 v82, v51, v20
	v_fma_f32 v49, v52, v22, -v83
	v_dual_fmac_f32 v84, v53, v22 :: v_dual_add_f32 v53, v43, v67
	v_fma_f32 v51, v56, v14, -v87
	v_dual_fmac_f32 v86, v55, v12 :: v_dual_fmac_f32 v103, v61, v30
	v_fma_f32 v55, v58, v28, -v100
	v_fmac_f32_e32 v76, v63, v38
	v_fmac_f32_e32 v78, v47, v32
	v_fma_f32 v47, v48, v34, -v79
	v_fma_f32 v48, v50, v20, -v81
	v_sub_f32_e32 v61, v45, v55
	v_fma_f32 v50, v54, v12, -v85
	v_fmac_f32_e32 v88, v57, v14
	v_fma_f32 v57, v60, v30, -v102
	v_dual_add_f32 v85, v48, v49 :: v_dual_add_f32 v52, v42, v44
	s_delay_alu instid0(VALU_DEP_4) | instskip(SKIP_1) | instid1(VALU_DEP_4)
	v_add_f32_e32 v77, v47, v50
	v_add_f32_e32 v56, v67, v103
	v_dual_add_f32 v54, v44, v57 :: v_dual_sub_f32 v75, v78, v88
	v_dual_sub_f32 v44, v44, v57 :: v_dual_sub_f32 v81, v47, v50
	v_sub_f32_e32 v58, v67, v103
	v_dual_add_f32 v59, v45, v55 :: v_dual_add_f32 v66, v78, v88
	v_add_f32_e32 v45, v52, v45
	v_dual_sub_f32 v67, v46, v51 :: v_dual_add_f32 v52, v53, v76
	v_mul_f32_e32 v113, 0xbf4178ce, v61
	v_dual_add_f32 v63, v46, v51 :: v_dual_add_f32 v60, v76, v101
	v_add_f32_e32 v87, v82, v84
	v_sub_f32_e32 v83, v80, v86
	v_dual_sub_f32 v62, v76, v101 :: v_dual_mul_f32 v53, 0xbf0a6770, v58
	v_dual_sub_f32 v100, v48, v49 :: v_dual_mul_f32 v105, 0xbf68dda4, v44
	;; [unrolled: 1-line block ×3, first 2 shown]
	v_dual_mul_f32 v76, 0xbf0a6770, v44 :: v_dual_mul_f32 v125, 0xbf0a6770, v67
	v_dual_mul_f32 v106, 0xbf7d64f0, v58 :: v_dual_mul_f32 v107, 0xbf7d64f0, v44
	;; [unrolled: 1-line block ×3, first 2 shown]
	v_dual_mul_f32 v44, 0xbe903f40, v44 :: v_dual_add_f32 v45, v45, v46
	v_mul_f32_e32 v104, 0xbf68dda4, v58
	v_dual_mul_f32 v121, 0x3e903f40, v67 :: v_dual_add_f32 v46, v52, v78
	v_add_f32_e32 v79, v80, v86
	v_dual_mul_f32 v58, 0xbe903f40, v58 :: v_dual_mul_f32 v133, 0xbe903f40, v81
	v_mul_f32_e32 v112, 0xbf4178ce, v62
	v_dual_mul_f32 v114, 0x3e903f40, v62 :: v_dual_mul_f32 v115, 0x3e903f40, v61
	v_dual_mul_f32 v116, 0x3f7d64f0, v62 :: v_dual_mul_f32 v117, 0x3f7d64f0, v61
	v_mul_f32_e32 v61, 0x3f0a6770, v61
	v_mul_f32_e32 v119, 0xbf7d64f0, v67
	;; [unrolled: 1-line block ×3, first 2 shown]
	v_dual_mul_f32 v123, 0x3f68dda4, v67 :: v_dual_mul_f32 v140, 0x3f68dda4, v102
	v_dual_mul_f32 v124, 0xbf0a6770, v75 :: v_dual_mul_f32 v131, 0xbf0a6770, v81
	;; [unrolled: 1-line block ×6, first 2 shown]
	v_mul_f32_e32 v81, 0x3f68dda4, v81
	v_dual_mul_f32 v136, 0x3f0a6770, v102 :: v_dual_mul_f32 v137, 0x3f0a6770, v100
	v_fma_f32 v52, 0x3f575c64, v54, -v53
	v_mul_f32_e32 v110, 0xbf68dda4, v62
	v_mul_f32_e32 v62, 0x3f0a6770, v62
	v_dual_fmamk_f32 v78, v56, 0x3f575c64, v76 :: v_dual_fmac_f32 v53, 0x3f575c64, v54
	v_mul_f32_e32 v118, 0xbf7d64f0, v75
	v_mul_f32_e32 v139, 0xbf4178ce, v100
	v_fma_f32 v76, 0x3f575c64, v56, -v76
	v_fma_f32 v144, 0xbe11bafb, v54, -v106
	v_dual_fmamk_f32 v145, v56, 0xbe11bafb, v107 :: v_dual_fmac_f32 v106, 0xbe11bafb, v54
	v_mul_f32_e32 v130, 0xbf0a6770, v83
	v_dual_mul_f32 v83, 0x3f68dda4, v83 :: v_dual_add_f32 v46, v46, v80
	v_fma_f32 v107, 0xbe11bafb, v56, -v107
	v_mul_f32_e32 v134, 0xbe903f40, v102
	v_mul_f32_e32 v102, 0xbf7d64f0, v102
	v_fma_f32 v146, 0xbf27a4f4, v54, -v108
	v_dual_fmamk_f32 v147, v56, 0xbf27a4f4, v109 :: v_dual_fmac_f32 v108, 0xbf27a4f4, v54
	v_fma_f32 v109, 0xbf27a4f4, v56, -v109
	v_dual_fmamk_f32 v149, v56, 0xbf75a155, v44 :: v_dual_add_f32 v76, v43, v76
	v_fma_f32 v44, 0xbf75a155, v56, -v44
	v_add_f32_e32 v45, v45, v47
	v_fma_f32 v142, 0x3ed4b147, v54, -v104
	v_mul_f32_e32 v141, 0x3f68dda4, v100
	v_mul_f32_e32 v100, 0xbf7d64f0, v100
	v_dual_fmamk_f32 v143, v56, 0x3ed4b147, v105 :: v_dual_fmac_f32 v104, 0x3ed4b147, v54
	v_mul_f32_e32 v120, 0x3e903f40, v75
	v_mul_f32_e32 v75, 0xbf4178ce, v75
	v_fma_f32 v105, 0x3ed4b147, v56, -v105
	v_fma_f32 v148, 0xbf75a155, v54, -v58
	v_dual_fmac_f32 v58, 0xbf75a155, v54 :: v_dual_fmamk_f32 v153, v60, 0xbf75a155, v115
	v_dual_fmamk_f32 v56, v60, 0x3ed4b147, v111 :: v_dual_add_f32 v109, v43, v109
	v_fma_f32 v111, 0x3ed4b147, v60, -v111
	v_fma_f32 v150, 0xbf27a4f4, v59, -v112
	v_dual_fmamk_f32 v151, v60, 0xbf27a4f4, v113 :: v_dual_fmac_f32 v112, 0xbf27a4f4, v59
	v_fma_f32 v113, 0xbf27a4f4, v60, -v113
	v_fma_f32 v152, 0xbf75a155, v59, -v114
	v_dual_fmac_f32 v114, 0xbf75a155, v59 :: v_dual_fmamk_f32 v159, v66, 0xbf75a155, v121
	v_fma_f32 v115, 0xbf75a155, v60, -v115
	v_fma_f32 v154, 0xbe11bafb, v59, -v116
	v_dual_fmamk_f32 v155, v60, 0xbe11bafb, v117 :: v_dual_fmac_f32 v116, 0xbe11bafb, v59
	v_fma_f32 v117, 0xbe11bafb, v60, -v117
	v_fma_f32 v156, 0x3f575c64, v59, -v62
	v_dual_fmamk_f32 v157, v60, 0x3f575c64, v61 :: v_dual_fmac_f32 v62, 0x3f575c64, v59
	v_fma_f32 v158, 0xbf75a155, v63, -v120
	v_dual_fmac_f32 v120, 0xbf75a155, v63 :: v_dual_fmamk_f32 v171, v79, 0xbf75a155, v133
	v_fma_f32 v121, 0xbf75a155, v66, -v121
	v_fma_f32 v160, 0x3ed4b147, v63, -v122
	v_dual_fmamk_f32 v161, v66, 0x3ed4b147, v123 :: v_dual_fmac_f32 v122, 0x3ed4b147, v63
	v_fmamk_f32 v173, v79, 0x3ed4b147, v81
	v_fma_f32 v123, 0x3ed4b147, v66, -v123
	v_fma_f32 v162, 0x3f575c64, v63, -v124
	v_dual_fmamk_f32 v163, v66, 0x3f575c64, v125 :: v_dual_fmac_f32 v124, 0x3f575c64, v63
	v_fma_f32 v125, 0x3f575c64, v66, -v125
	v_fma_f32 v164, 0xbf27a4f4, v63, -v75
	v_fmamk_f32 v165, v66, 0xbf27a4f4, v67
	v_fmac_f32_e32 v75, 0xbf27a4f4, v63
	v_fma_f32 v166, 0xbe11bafb, v77, -v128
	v_dual_fmamk_f32 v167, v79, 0xbe11bafb, v129 :: v_dual_fmac_f32 v128, 0xbe11bafb, v77
	v_fma_f32 v129, 0xbe11bafb, v79, -v129
	v_fma_f32 v168, 0x3f575c64, v77, -v130
	v_dual_fmamk_f32 v169, v79, 0x3f575c64, v131 :: v_dual_fmac_f32 v130, 0x3f575c64, v77
	v_fma_f32 v131, 0x3f575c64, v79, -v131
	v_fma_f32 v170, 0xbf75a155, v77, -v132
	v_fmac_f32_e32 v132, 0xbf75a155, v77
	v_fma_f32 v133, 0xbf75a155, v79, -v133
	v_fma_f32 v172, 0x3ed4b147, v77, -v83
	v_dual_fmac_f32 v83, 0x3ed4b147, v77 :: v_dual_add_f32 v80, v43, v143
	v_fma_f32 v174, 0x3f575c64, v85, -v136
	v_dual_fmamk_f32 v175, v87, 0x3f575c64, v137 :: v_dual_fmac_f32 v136, 0x3f575c64, v85
	v_fma_f32 v176, 0xbf27a4f4, v85, -v138
	v_fmac_f32_e32 v138, 0xbf27a4f4, v85
	v_fma_f32 v178, 0x3ed4b147, v85, -v140
	v_fmac_f32_e32 v140, 0x3ed4b147, v85
	v_fma_f32 v180, 0xbe11bafb, v85, -v102
	v_dual_fmac_f32 v102, 0xbe11bafb, v85 :: v_dual_add_f32 v47, v42, v52
	v_fma_f32 v54, 0x3ed4b147, v59, -v110
	v_fmac_f32_e32 v110, 0x3ed4b147, v59
	v_fma_f32 v59, 0x3f575c64, v60, -v61
	v_add_f32_e32 v52, v43, v78
	v_dual_fmamk_f32 v177, v87, 0xbf27a4f4, v139 :: v_dual_add_f32 v106, v42, v106
	v_add_f32_e32 v53, v42, v53
	v_fma_f32 v60, 0xbe11bafb, v63, -v118
	v_dual_fmamk_f32 v61, v66, 0xbe11bafb, v119 :: v_dual_fmac_f32 v118, 0xbe11bafb, v63
	v_fma_f32 v119, 0xbe11bafb, v66, -v119
	v_fma_f32 v63, 0xbf27a4f4, v66, -v67
	;; [unrolled: 1-line block ×3, first 2 shown]
	v_dual_fmamk_f32 v67, v79, 0xbf27a4f4, v127 :: v_dual_fmac_f32 v126, 0xbf27a4f4, v77
	v_fma_f32 v127, 0xbf27a4f4, v79, -v127
	v_fma_f32 v77, 0x3ed4b147, v79, -v81
	v_dual_add_f32 v78, v42, v142 :: v_dual_fmamk_f32 v179, v87, 0x3ed4b147, v141
	v_add_f32_e32 v107, v43, v107
	v_fma_f32 v79, 0xbf75a155, v85, -v134
	v_dual_fmac_f32 v134, 0xbf75a155, v85 :: v_dual_add_f32 v143, v43, v147
	v_dual_fmamk_f32 v181, v87, 0xbe11bafb, v100 :: v_dual_add_f32 v142, v42, v146
	v_fma_f32 v85, 0xbe11bafb, v87, -v100
	v_add_f32_e32 v100, v43, v105
	v_dual_add_f32 v105, v43, v145 :: v_dual_add_f32 v108, v42, v108
	v_add_f32_e32 v145, v43, v149
	v_add_f32_e32 v43, v43, v44
	v_dual_add_f32 v44, v45, v48 :: v_dual_add_f32 v45, v46, v82
	v_fmamk_f32 v81, v87, 0xbf75a155, v135
	v_fma_f32 v135, 0xbf75a155, v87, -v135
	v_fma_f32 v137, 0x3f575c64, v87, -v137
	;; [unrolled: 1-line block ×4, first 2 shown]
	v_add_f32_e32 v87, v42, v104
	v_add_f32_e32 v104, v42, v144
	v_dual_add_f32 v46, v54, v47 :: v_dual_add_f32 v45, v45, v84
	v_dual_add_f32 v47, v56, v52 :: v_dual_add_f32 v48, v110, v53
	v_add_f32_e32 v43, v59, v43
	v_add_f32_e32 v52, v111, v76
	s_delay_alu instid0(VALU_DEP_3) | instskip(NEXT) | instid1(VALU_DEP_3)
	v_dual_add_f32 v54, v151, v80 :: v_dual_add_f32 v47, v61, v47
	v_dual_add_f32 v80, v114, v106 :: v_dual_add_f32 v43, v63, v43
	;; [unrolled: 1-line block ×3, first 2 shown]
	v_add_f32_e32 v144, v42, v148
	v_dual_add_f32 v42, v42, v58 :: v_dual_add_f32 v107, v157, v145
	v_dual_add_f32 v53, v150, v78 :: v_dual_add_f32 v56, v112, v87
	v_add_f32_e32 v58, v113, v100
	v_dual_add_f32 v78, v153, v105 :: v_dual_add_f32 v61, v123, v82
	v_dual_add_f32 v76, v152, v104 :: v_dual_add_f32 v87, v154, v142
	;; [unrolled: 1-line block ×3, first 2 shown]
	v_add_f32_e32 v60, v122, v80
	v_dual_add_f32 v44, v44, v49 :: v_dual_add_f32 v49, v119, v52
	v_dual_add_f32 v104, v116, v108 :: v_dual_add_f32 v47, v67, v47
	;; [unrolled: 1-line block ×3, first 2 shown]
	s_delay_alu instid0(VALU_DEP_3)
	v_add_f32_e32 v49, v127, v49
	v_dual_add_f32 v52, v158, v53 :: v_dual_add_f32 v53, v159, v54
	v_add_f32_e32 v54, v120, v56
	v_add_f32_e32 v56, v121, v58
	v_dual_add_f32 v59, v161, v78 :: v_dual_add_f32 v58, v160, v76
	v_add_f32_e32 v100, v155, v143
	v_add_f32_e32 v44, v44, v50
	;; [unrolled: 1-line block ×4, first 2 shown]
	v_dual_add_f32 v52, v167, v53 :: v_dual_add_f32 v53, v128, v54
	v_dual_add_f32 v66, v131, v61 :: v_dual_add_f32 v61, v81, v47
	;; [unrolled: 1-line block ×3, first 2 shown]
	v_add_f32_e32 v56, v168, v58
	v_add_f32_e32 v58, v169, v59
	v_dual_add_f32 v48, v118, v48 :: v_dual_add_f32 v77, v44, v51
	v_add_f32_e32 v76, v163, v100
	s_delay_alu instid0(VALU_DEP_3) | instskip(SKIP_1) | instid1(VALU_DEP_4)
	v_dual_add_f32 v44, v136, v53 :: v_dual_add_f32 v53, v177, v58
	v_add_f32_e32 v42, v62, v42
	v_dual_add_f32 v82, v164, v106 :: v_dual_add_f32 v49, v77, v55
	v_dual_add_f32 v62, v162, v87 :: v_dual_add_f32 v63, v175, v52
	s_delay_alu instid0(VALU_DEP_3) | instskip(SKIP_4) | instid1(VALU_DEP_4)
	v_add_f32_e32 v42, v75, v42
	v_add_f32_e32 v75, v171, v76
	v_dual_add_f32 v78, v124, v104 :: v_dual_add_f32 v51, v139, v66
	v_add_f32_e32 v80, v125, v105
	v_add_f32_e32 v84, v165, v107
	;; [unrolled: 1-line block ×3, first 2 shown]
	v_dual_add_f32 v75, v49, v57 :: v_dual_add_f32 v42, v83, v42
	v_add_f32_e32 v83, v45, v88
	v_add_f32_e32 v67, v170, v62
	;; [unrolled: 1-line block ×6, first 2 shown]
	v_dual_add_f32 v48, v126, v48 :: v_dual_add_f32 v45, v137, v54
	v_dual_add_f32 v59, v130, v60 :: v_dual_add_f32 v58, v83, v101
	s_delay_alu instid0(VALU_DEP_3) | instskip(SKIP_1) | instid1(VALU_DEP_4)
	v_add_f32_e32 v57, v181, v82
	v_add_f32_e32 v60, v79, v46
	;; [unrolled: 1-line block ×13, first 2 shown]
	ds_store_b64 v93, v[75:76]
	ds_store_2addr_b64 v93, v[60:61], v[62:63] offset0:51 offset1:102
	ds_store_2addr_b64 v93, v[52:53], v[54:55] offset0:153 offset1:204
	;; [unrolled: 1-line block ×5, first 2 shown]
	global_wb scope:SCOPE_SE
	s_wait_dscnt 0x0
	s_barrier_signal -1
	s_barrier_wait -1
	global_inv scope:SCOPE_SE
	s_and_saveexec_b32 s1, vcc_lo
	s_cbranch_execz .LBB0_13
; %bb.12:
	global_load_b64 v[42:43], v89, s[8:9] offset:4488
	s_add_nc_u64 s[2:3], s[8:9], 0x1188
	s_clause 0xf
	global_load_b64 v[66:67], v89, s[2:3] offset:264
	global_load_b64 v[120:121], v89, s[2:3] offset:528
	;; [unrolled: 1-line block ×16, first 2 shown]
	ds_load_b64 v[77:78], v93
	s_wait_loadcnt_dscnt 0x1000
	v_dual_mul_f32 v79, v78, v43 :: v_dual_add_nc_u32 v150, 0xc00, v93
	v_mul_f32_e32 v80, v77, v43
	s_delay_alu instid0(VALU_DEP_2) | instskip(NEXT) | instid1(VALU_DEP_2)
	v_fma_f32 v79, v77, v42, -v79
	v_fmac_f32_e32 v80, v78, v42
	ds_store_b64 v93, v[79:80]
	ds_load_2addr_b64 v[77:80], v93 offset0:33 offset1:66
	ds_load_2addr_b64 v[81:84], v93 offset0:99 offset1:132
	;; [unrolled: 1-line block ×8, first 2 shown]
	s_wait_loadcnt_dscnt 0xf07
	v_mul_f32_e32 v43, v77, v67
	s_wait_loadcnt 0xe
	v_dual_mul_f32 v42, v78, v67 :: v_dual_mul_f32 v151, v80, v121
	s_wait_loadcnt_dscnt 0xd06
	v_dual_mul_f32 v67, v79, v121 :: v_dual_mul_f32 v152, v82, v123
	s_wait_loadcnt 0xc
	v_mul_f32_e32 v153, v84, v125
	v_mul_f32_e32 v121, v81, v123
	s_wait_loadcnt_dscnt 0xb05
	v_dual_mul_f32 v123, v83, v125 :: v_dual_mul_f32 v154, v86, v127
	v_mul_f32_e32 v125, v85, v127
	s_wait_loadcnt_dscnt 0x904
	v_dual_mul_f32 v155, v88, v129 :: v_dual_mul_f32 v156, v101, v131
	s_wait_loadcnt_dscnt 0x703
	v_dual_mul_f32 v127, v87, v129 :: v_dual_mul_f32 v158, v105, v135
	v_mul_f32_e32 v129, v100, v131
	s_wait_loadcnt_dscnt 0x502
	v_dual_mul_f32 v157, v103, v133 :: v_dual_mul_f32 v160, v109, v139
	;; [unrolled: 5-line block ×3, first 2 shown]
	v_mul_f32_e32 v135, v106, v137
	v_mul_f32_e32 v137, v108, v139
	;; [unrolled: 1-line block ×8, first 2 shown]
	s_wait_loadcnt 0x0
	v_mul_f32_e32 v165, v119, v149
	v_mul_f32_e32 v147, v118, v149
	v_fma_f32 v42, v77, v66, -v42
	v_fmac_f32_e32 v43, v78, v66
	v_fma_f32 v66, v79, v120, -v151
	v_fmac_f32_e32 v67, v80, v120
	;; [unrolled: 2-line block ×16, first 2 shown]
	ds_store_2addr_b64 v93, v[42:43], v[66:67] offset0:33 offset1:66
	ds_store_2addr_b64 v93, v[120:121], v[122:123] offset0:99 offset1:132
	;; [unrolled: 1-line block ×8, first 2 shown]
.LBB0_13:
	s_wait_alu 0xfffe
	s_or_b32 exec_lo, exec_lo, s1
	global_wb scope:SCOPE_SE
	s_wait_dscnt 0x0
	s_barrier_signal -1
	s_barrier_wait -1
	global_inv scope:SCOPE_SE
	s_and_saveexec_b32 s1, vcc_lo
	s_cbranch_execz .LBB0_15
; %bb.14:
	v_add_nc_u32_e32 v44, 0x800, v93
	ds_load_2addr_b64 v[40:43], v44 offset0:107 offset1:140
	s_wait_dscnt 0x0
	v_dual_mov_b32 v74, v43 :: v_dual_add_nc_u32 v45, 0x400, v93
	v_mov_b32_e32 v73, v42
	ds_load_2addr_b64 v[64:67], v44 offset0:173 offset1:206
	s_wait_dscnt 0x0
	v_dual_mov_b32 v71, v64 :: v_dual_add_nc_u32 v0, 0xc00, v93
	ds_load_2addr_b64 v[0:3], v0 offset0:111 offset1:144
	ds_load_b64 v[75:76], v93
	ds_load_2addr_b64 v[60:63], v93 offset0:33 offset1:66
	ds_load_2addr_b64 v[52:55], v93 offset0:99 offset1:132
	ds_load_2addr_b64 v[56:59], v93 offset0:165 offset1:198
	ds_load_2addr_b64 v[48:51], v45 offset0:103 offset1:136
	ds_load_2addr_b64 v[44:47], v44 offset0:41 offset1:74
	v_dual_mov_b32 v72, v65 :: v_dual_mov_b32 v69, v66
	v_mov_b32_e32 v70, v67
.LBB0_15:
	s_wait_alu 0xfffe
	s_or_b32 exec_lo, exec_lo, s1
	s_wait_dscnt 0x4
	v_dual_sub_f32 v116, v61, v3 :: v_dual_sub_f32 v101, v60, v2
	v_add_f32_e32 v120, v3, v61
	v_dual_add_f32 v102, v0, v62 :: v_dual_sub_f32 v103, v62, v0
	s_delay_alu instid0(VALU_DEP_3) | instskip(NEXT) | instid1(VALU_DEP_3)
	v_mul_f32_e32 v79, 0xbf4c4adb, v116
	v_dual_sub_f32 v117, v63, v1 :: v_dual_mul_f32 v80, 0xbf1a4643, v120
	v_add_f32_e32 v100, v2, v60
	v_mul_f32_e32 v43, 0xbf59a7d5, v120
	v_mul_f32_e32 v42, 0xbf06c442, v116
	;; [unrolled: 1-line block ×3, first 2 shown]
	v_fmamk_f32 v65, v101, 0xbf4c4adb, v80
	v_fma_f32 v64, 0xbf1a4643, v100, -v79
	v_fmamk_f32 v67, v101, 0xbf06c442, v43
	v_mul_f32_e32 v134, 0xbe3c28d5, v116
	v_mul_f32_e32 v81, 0x3f763a35, v117
	s_delay_alu instid0(VALU_DEP_4) | instskip(NEXT) | instid1(VALU_DEP_4)
	v_dual_add_f32 v65, v76, v65 :: v_dual_add_f32 v64, v75, v64
	v_add_f32_e32 v67, v76, v67
	s_delay_alu instid0(VALU_DEP_4)
	v_fma_f32 v77, 0xbf7ba420, v100, -v134
	v_add_f32_e32 v122, v1, v63
	v_fma_f32 v83, 0xbe8c1d8e, v102, -v81
	s_wait_dscnt 0x3
	v_add_f32_e32 v124, v70, v53
	v_fma_f32 v66, 0xbf59a7d5, v100, -v42
	v_dual_add_f32 v77, v75, v77 :: v_dual_mul_f32 v82, 0xbe8c1d8e, v122
	v_dual_add_f32 v64, v83, v64 :: v_dual_mul_f32 v139, 0x3eb8f4ab, v117
	s_delay_alu instid0(VALU_DEP_3) | instskip(NEXT) | instid1(VALU_DEP_3)
	v_dual_sub_f32 v105, v52, v69 :: v_dual_add_f32 v66, v75, v66
	v_fmamk_f32 v84, v103, 0x3f763a35, v82
	s_wait_dscnt 0x2
	v_dual_add_f32 v126, v72, v55 :: v_dual_sub_f32 v121, v57, v74
	v_dual_sub_f32 v123, v59, v41 :: v_dual_add_f32 v128, v41, v59
	s_delay_alu instid0(VALU_DEP_3)
	v_add_f32_e32 v65, v84, v65
	v_fma_f32 v84, 0x3f6eb680, v102, -v139
	v_mul_f32_e32 v132, 0x3ee437d1, v122
	v_mul_f32_e32 v143, 0xbf1a4643, v126
	global_wb scope:SCOPE_SE
	s_wait_dscnt 0x0
	s_barrier_signal -1
	v_add_f32_e32 v77, v84, v77
	v_dual_mul_f32 v86, 0x3f65296c, v117 :: v_dual_fmamk_f32 v87, v103, 0x3f65296c, v132
	v_mul_f32_e32 v138, 0x3dbcf732, v124
	v_fmamk_f32 v78, v101, 0xbe3c28d5, v140
	s_barrier_wait -1
	s_delay_alu instid0(VALU_DEP_3) | instskip(NEXT) | instid1(VALU_DEP_3)
	v_fma_f32 v85, 0x3ee437d1, v102, -v86
	v_dual_add_f32 v67, v87, v67 :: v_dual_fmamk_f32 v88, v105, 0xbf7ee86f, v138
	v_mul_f32_e32 v148, 0x3f6eb680, v122
	global_inv scope:SCOPE_SE
	v_dual_add_f32 v66, v85, v66 :: v_dual_mul_f32 v85, 0x3f6eb680, v124
	v_add_f32_e32 v67, v88, v67
	v_dual_add_f32 v78, v76, v78 :: v_dual_fmamk_f32 v87, v103, 0x3eb8f4ab, v148
	v_sub_f32_e32 v119, v55, v72
	v_dual_add_f32 v106, v71, v54 :: v_dual_sub_f32 v107, v54, v71
	s_delay_alu instid0(VALU_DEP_3) | instskip(SKIP_1) | instid1(VALU_DEP_4)
	v_dual_add_f32 v129, v74, v57 :: v_dual_add_f32 v78, v87, v78
	v_fmamk_f32 v87, v105, 0xbeb8f4ab, v85
	v_dual_sub_f32 v118, v53, v70 :: v_dual_mul_f32 v137, 0x3f4c4adb, v119
	s_delay_alu instid0(VALU_DEP_3) | instskip(SKIP_1) | instid1(VALU_DEP_4)
	v_mul_f32_e32 v136, 0x3dbcf732, v129
	v_mul_f32_e32 v149, 0x3f6eb680, v129
	v_dual_add_f32 v65, v87, v65 :: v_dual_add_f32 v104, v69, v52
	s_delay_alu instid0(VALU_DEP_4)
	v_mul_f32_e32 v83, 0xbeb8f4ab, v118
	v_mul_f32_e32 v133, 0xbf7ee86f, v118
	;; [unrolled: 1-line block ×3, first 2 shown]
	v_fma_f32 v109, 0xbf1a4643, v106, -v137
	v_mul_f32_e32 v161, 0xbf1a4643, v129
	v_fma_f32 v84, 0x3f6eb680, v104, -v83
	s_delay_alu instid0(VALU_DEP_4) | instskip(NEXT) | instid1(VALU_DEP_2)
	v_fma_f32 v87, 0xbf59a7d5, v104, -v146
	v_add_f32_e32 v64, v84, v64
	v_fma_f32 v84, 0x3dbcf732, v104, -v133
	v_mul_f32_e32 v153, 0xbf59a7d5, v124
	s_delay_alu instid0(VALU_DEP_2) | instskip(SKIP_2) | instid1(VALU_DEP_3)
	v_dual_add_f32 v77, v87, v77 :: v_dual_add_f32 v66, v84, v66
	v_mul_f32_e32 v151, 0x3f2c7751, v119
	v_mul_f32_e32 v84, 0xbf06c442, v119
	v_add_f32_e32 v66, v109, v66
	s_delay_alu instid0(VALU_DEP_3) | instskip(SKIP_2) | instid1(VALU_DEP_2)
	v_fma_f32 v110, 0x3f3d2fb0, v106, -v151
	v_dual_fmamk_f32 v88, v105, 0xbf06c442, v153 :: v_dual_sub_f32 v109, v56, v73
	v_mul_f32_e32 v144, 0xbeb8f4ab, v121
	v_dual_add_f32 v77, v110, v77 :: v_dual_add_f32 v78, v88, v78
	v_fma_f32 v88, 0xbf59a7d5, v106, -v84
	v_mul_f32_e32 v87, 0xbf59a7d5, v126
	v_fmamk_f32 v113, v109, 0xbeb8f4ab, v149
	s_delay_alu instid0(VALU_DEP_3) | instskip(NEXT) | instid1(VALU_DEP_3)
	v_dual_fmamk_f32 v111, v109, 0x3f7ee86f, v136 :: v_dual_add_f32 v64, v88, v64
	v_fmamk_f32 v108, v107, 0xbf06c442, v87
	v_mul_f32_e32 v157, 0x3f3d2fb0, v126
	s_delay_alu instid0(VALU_DEP_2) | instskip(SKIP_1) | instid1(VALU_DEP_2)
	v_dual_add_f32 v65, v108, v65 :: v_dual_add_f32 v108, v73, v56
	v_fmamk_f32 v88, v107, 0x3f4c4adb, v143
	v_add_f32_e32 v65, v111, v65
	s_delay_alu instid0(VALU_DEP_3) | instskip(NEXT) | instid1(VALU_DEP_3)
	v_fma_f32 v112, 0x3f6eb680, v108, -v144
	v_dual_add_f32 v67, v88, v67 :: v_dual_fmamk_f32 v110, v107, 0x3f2c7751, v157
	v_dual_mul_f32 v88, 0x3f7ee86f, v121 :: v_dual_sub_f32 v111, v58, v40
	s_delay_alu instid0(VALU_DEP_2) | instskip(NEXT) | instid1(VALU_DEP_3)
	v_dual_add_f32 v66, v112, v66 :: v_dual_add_f32 v67, v113, v67
	v_add_f32_e32 v78, v110, v78
	v_fmamk_f32 v112, v109, 0xbf4c4adb, v161
	v_mul_f32_e32 v155, 0xbf7ba420, v128
	v_fma_f32 v110, 0x3dbcf732, v108, -v88
	v_mul_f32_e32 v142, 0x3f3d2fb0, v128
	s_delay_alu instid0(VALU_DEP_4) | instskip(NEXT) | instid1(VALU_DEP_4)
	v_dual_mul_f32 v135, 0xbf2c7751, v123 :: v_dual_add_f32 v78, v112, v78
	v_dual_mul_f32 v150, 0xbe3c28d5, v123 :: v_dual_fmamk_f32 v125, v111, 0xbe3c28d5, v155
	v_mul_f32_e32 v156, 0xbf4c4adb, v121
	v_add_f32_e32 v64, v110, v64
	s_delay_alu instid0(VALU_DEP_3) | instskip(NEXT) | instid1(VALU_DEP_3)
	v_dual_fmamk_f32 v114, v111, 0xbf2c7751, v142 :: v_dual_add_f32 v67, v125, v67
	v_fma_f32 v110, 0xbf1a4643, v108, -v156
	v_sub_f32_e32 v125, v49, v47
	s_delay_alu instid0(VALU_DEP_3) | instskip(NEXT) | instid1(VALU_DEP_3)
	v_add_f32_e32 v65, v114, v65
	v_dual_add_f32 v77, v110, v77 :: v_dual_add_f32 v110, v40, v58
	v_mul_f32_e32 v164, 0x3ee437d1, v128
	v_mul_f32_e32 v160, 0x3f65296c, v123
	;; [unrolled: 1-line block ×4, first 2 shown]
	v_fma_f32 v115, 0xbf7ba420, v110, -v150
	v_fma_f32 v113, 0x3f3d2fb0, v110, -v135
	s_delay_alu instid0(VALU_DEP_2) | instskip(NEXT) | instid1(VALU_DEP_2)
	v_dual_mul_f32 v163, 0xbf763a35, v125 :: v_dual_add_f32 v66, v115, v66
	v_dual_add_f32 v64, v113, v64 :: v_dual_sub_f32 v113, v48, v46
	v_add_f32_e32 v130, v47, v49
	v_dual_add_f32 v112, v46, v48 :: v_dual_fmamk_f32 v115, v111, 0x3f65296c, v164
	v_fma_f32 v114, 0x3ee437d1, v110, -v160
	s_delay_alu instid0(VALU_DEP_3) | instskip(NEXT) | instid1(VALU_DEP_3)
	v_mul_f32_e32 v145, 0xbf7ba420, v130
	v_fma_f32 v127, 0xbf7ba420, v112, -v141
	s_delay_alu instid0(VALU_DEP_3) | instskip(SKIP_1) | instid1(VALU_DEP_3)
	v_dual_add_f32 v78, v115, v78 :: v_dual_add_f32 v77, v114, v77
	v_fma_f32 v114, 0x3f3d2fb0, v112, -v154
	v_dual_fmamk_f32 v131, v113, 0xbe3c28d5, v145 :: v_dual_add_f32 v64, v127, v64
	v_mul_f32_e32 v159, 0x3f3d2fb0, v130
	v_dual_sub_f32 v127, v51, v45 :: v_dual_mul_f32 v166, 0xbe8c1d8e, v130
	s_delay_alu instid0(VALU_DEP_3) | instskip(NEXT) | instid1(VALU_DEP_2)
	v_dual_add_f32 v65, v131, v65 :: v_dual_add_f32 v168, v114, v66
	v_dual_add_f32 v114, v44, v50 :: v_dual_mul_f32 v147, 0x3f65296c, v127
	v_fma_f32 v115, 0xbe8c1d8e, v112, -v163
	v_fmamk_f32 v66, v113, 0x3f2c7751, v159
	v_fmamk_f32 v152, v113, 0xbf763a35, v166
	v_mul_f32_e32 v165, 0x3f7ee86f, v127
	s_delay_alu instid0(VALU_DEP_4)
	v_add_f32_e32 v77, v115, v77
	v_sub_f32_e32 v115, v50, v44
	v_add_f32_e32 v169, v66, v67
	v_dual_add_f32 v131, v45, v51 :: v_dual_add_f32 v78, v152, v78
	v_fma_f32 v66, 0x3ee437d1, v114, -v147
	v_fma_f32 v172, 0x3dbcf732, v114, -v165
	s_delay_alu instid0(VALU_DEP_3) | instskip(SKIP_1) | instid1(VALU_DEP_4)
	v_mul_f32_e32 v152, 0x3ee437d1, v131
	v_mul_f32_e32 v162, 0xbe8c1d8e, v131
	v_add_f32_e32 v66, v66, v64
	s_delay_alu instid0(VALU_DEP_4) | instskip(NEXT) | instid1(VALU_DEP_4)
	v_dual_mul_f32 v158, 0xbf763a35, v127 :: v_dual_add_f32 v77, v172, v77
	v_fmamk_f32 v64, v115, 0x3f65296c, v152
	s_delay_alu instid0(VALU_DEP_4) | instskip(NEXT) | instid1(VALU_DEP_3)
	v_fmamk_f32 v171, v115, 0xbf763a35, v162
	v_fma_f32 v170, 0xbe8c1d8e, v114, -v158
	v_mul_f32_e32 v167, 0x3dbcf732, v131
	s_delay_alu instid0(VALU_DEP_4) | instskip(NEXT) | instid1(VALU_DEP_3)
	v_add_f32_e32 v67, v64, v65
	v_dual_add_f32 v65, v171, v169 :: v_dual_add_f32 v64, v170, v168
	s_delay_alu instid0(VALU_DEP_3) | instskip(NEXT) | instid1(VALU_DEP_1)
	v_fmamk_f32 v173, v115, 0x3f7ee86f, v167
	v_add_f32_e32 v78, v173, v78
	s_and_saveexec_b32 s1, vcc_lo
	s_cbranch_execz .LBB0_17
; %bb.16:
	v_mul_f32_e32 v172, 0xbf7ba420, v100
	v_dual_mul_f32 v173, 0xbe3c28d5, v101 :: v_dual_mul_f32 v200, 0xbe3c28d5, v111
	v_mul_f32_e32 v175, 0x3f763a35, v103
	v_mul_f32_e32 v190, 0x3f3d2fb0, v106
	;; [unrolled: 1-line block ×3, first 2 shown]
	s_delay_alu instid0(VALU_DEP_4) | instskip(SKIP_1) | instid1(VALU_DEP_3)
	v_dual_sub_f32 v140, v140, v173 :: v_dual_mul_f32 v173, 0xbf7ba420, v110
	v_dual_mul_f32 v181, 0xbeb8f4ab, v105 :: v_dual_add_f32 v134, v172, v134
	v_dual_mul_f32 v168, 0xbf1a4643, v100 :: v_dual_add_f32 v139, v178, v139
	v_mul_f32_e32 v174, 0xbe8c1d8e, v102
	s_delay_alu instid0(VALU_DEP_3)
	v_dual_mul_f32 v187, 0xbf06c442, v107 :: v_dual_add_f32 v134, v75, v134
	v_mul_f32_e32 v202, 0x3f65296c, v111
	v_mul_f32_e32 v178, 0x3dbcf732, v114
	;; [unrolled: 1-line block ×4, first 2 shown]
	v_dual_mul_f32 v193, 0x3f7ee86f, v109 :: v_dual_add_f32 v134, v139, v134
	v_mul_f32_e32 v197, 0xbf4c4adb, v109
	s_delay_alu instid0(VALU_DEP_4)
	v_add_f32_e32 v139, v184, v146
	v_dual_sub_f32 v146, v164, v202 :: v_dual_mul_f32 v191, 0x3f2c7751, v107
	v_mul_f32_e32 v185, 0xbf06c442, v105
	v_mul_f32_e32 v179, 0x3eb8f4ab, v103
	v_dual_mul_f32 v169, 0xbf4c4adb, v101 :: v_dual_add_f32 v140, v76, v140
	v_mul_f32_e32 v171, 0xbf06c442, v101
	v_dual_mul_f32 v204, 0x3f3d2fb0, v112 :: v_dual_add_f32 v79, v168, v79
	s_delay_alu instid0(VALU_DEP_4) | instskip(NEXT) | instid1(VALU_DEP_4)
	v_sub_f32_e32 v148, v148, v179
	v_dual_mul_f32 v177, 0x3f65296c, v103 :: v_dual_sub_f32 v80, v80, v169
	s_delay_alu instid0(VALU_DEP_3) | instskip(NEXT) | instid1(VALU_DEP_3)
	v_dual_mul_f32 v172, 0xbe8c1d8e, v114 :: v_dual_add_f32 v79, v75, v79
	v_add_f32_e32 v140, v148, v140
	v_sub_f32_e32 v148, v153, v185
	s_delay_alu instid0(VALU_DEP_4) | instskip(SKIP_2) | instid1(VALU_DEP_4)
	v_dual_mul_f32 v183, 0xbf7ee86f, v105 :: v_dual_add_f32 v80, v76, v80
	v_sub_f32_e32 v82, v82, v175
	v_dual_mul_f32 v196, 0xbf1a4643, v108 :: v_dual_sub_f32 v85, v85, v181
	v_add_f32_e32 v140, v148, v140
	v_sub_f32_e32 v148, v157, v191
	s_delay_alu instid0(VALU_DEP_4) | instskip(SKIP_2) | instid1(VALU_DEP_4)
	v_dual_mul_f32 v189, 0x3f4c4adb, v107 :: v_dual_add_f32 v82, v82, v80
	v_mul_f32_e32 v206, 0x3ee437d1, v114
	v_dual_mul_f32 v176, 0x3ee437d1, v102 :: v_dual_sub_f32 v43, v43, v171
	v_add_f32_e32 v140, v148, v140
	v_sub_f32_e32 v148, v161, v197
	v_dual_mul_f32 v195, 0xbeb8f4ab, v109 :: v_dual_add_f32 v82, v85, v82
	v_sub_f32_e32 v85, v87, v187
	v_add_f32_e32 v87, v204, v154
	s_delay_alu instid0(VALU_DEP_4)
	v_add_f32_e32 v140, v148, v140
	v_mul_f32_e32 v148, 0x3f7ee86f, v115
	v_mul_f32_e32 v185, 0xbf763a35, v113
	;; [unrolled: 1-line block ×4, first 2 shown]
	v_add_f32_e32 v140, v146, v140
	v_dual_mul_f32 v180, 0x3f6eb680, v104 :: v_dual_add_f32 v43, v76, v43
	v_sub_f32_e32 v146, v166, v185
	v_mul_f32_e32 v205, 0x3f2c7751, v113
	v_dual_mul_f32 v157, 0x3f65296c, v115 :: v_dual_sub_f32 v132, v132, v177
	v_dual_mul_f32 v199, 0xbf2c7751, v111 :: v_dual_add_f32 v134, v139, v134
	s_delay_alu instid0(VALU_DEP_4) | instskip(SKIP_1) | instid1(VALU_DEP_4)
	v_add_f32_e32 v140, v146, v140
	v_sub_f32_e32 v146, v167, v148
	v_add_f32_e32 v132, v132, v43
	v_mul_f32_e32 v186, 0xbf59a7d5, v106
	v_mul_f32_e32 v153, 0xbe8c1d8e, v112
	v_add_f32_e32 v81, v174, v81
	v_add_f32_e32 v43, v146, v140
	;; [unrolled: 1-line block ×3, first 2 shown]
	v_dual_mul_f32 v203, 0xbe3c28d5, v113 :: v_dual_add_f32 v42, v170, v42
	s_delay_alu instid0(VALU_DEP_4) | instskip(NEXT) | instid1(VALU_DEP_3)
	v_dual_add_f32 v81, v81, v79 :: v_dual_mul_f32 v182, 0x3dbcf732, v104
	v_dual_add_f32 v134, v139, v134 :: v_dual_add_f32 v139, v196, v156
	v_mul_f32_e32 v188, 0xbf1a4643, v106
	s_delay_alu instid0(VALU_DEP_4) | instskip(SKIP_1) | instid1(VALU_DEP_4)
	v_dual_mul_f32 v161, 0xbf763a35, v115 :: v_dual_add_f32 v42, v75, v42
	v_add_f32_e32 v86, v176, v86
	v_dual_add_f32 v134, v139, v134 :: v_dual_add_f32 v139, v201, v160
	v_sub_f32_e32 v138, v138, v183
	v_dual_add_f32 v82, v85, v82 :: v_dual_sub_f32 v85, v136, v193
	v_mul_f32_e32 v136, 0xbf59a7d5, v122
	s_delay_alu instid0(VALU_DEP_4)
	v_dual_add_f32 v134, v139, v134 :: v_dual_add_f32 v139, v153, v163
	v_dual_mul_f32 v192, 0x3dbcf732, v108 :: v_dual_add_f32 v133, v182, v133
	v_add_f32_e32 v86, v86, v42
	v_mul_f32_e32 v194, 0x3f6eb680, v108
	v_dual_mul_f32 v198, 0x3f3d2fb0, v110 :: v_dual_add_f32 v83, v180, v83
	v_add_f32_e32 v82, v85, v82
	s_delay_alu instid0(VALU_DEP_4) | instskip(SKIP_1) | instid1(VALU_DEP_4)
	v_dual_add_f32 v86, v133, v86 :: v_dual_add_f32 v133, v188, v137
	v_sub_f32_e32 v85, v142, v199
	v_add_f32_e32 v81, v83, v81
	v_dual_add_f32 v83, v186, v84 :: v_dual_add_f32 v134, v139, v134
	s_delay_alu instid0(VALU_DEP_4) | instskip(SKIP_1) | instid1(VALU_DEP_3)
	v_dual_mul_f32 v137, 0x3f3d2fb0, v124 :: v_dual_add_f32 v86, v133, v86
	v_add_f32_e32 v133, v194, v144
	v_add_f32_e32 v81, v83, v81
	;; [unrolled: 1-line block ×3, first 2 shown]
	v_dual_add_f32 v139, v178, v165 :: v_dual_sub_f32 v84, v145, v203
	s_delay_alu instid0(VALU_DEP_4) | instskip(SKIP_1) | instid1(VALU_DEP_4)
	v_add_f32_e32 v86, v133, v86
	v_add_f32_e32 v133, v173, v150
	;; [unrolled: 1-line block ×3, first 2 shown]
	s_delay_alu instid0(VALU_DEP_4) | instskip(SKIP_1) | instid1(VALU_DEP_4)
	v_dual_add_f32 v83, v198, v135 :: v_dual_add_f32 v42, v139, v134
	v_sub_f32_e32 v134, v159, v205
	v_add_f32_e32 v86, v133, v86
	s_delay_alu instid0(VALU_DEP_3) | instskip(SKIP_1) | instid1(VALU_DEP_3)
	v_dual_mul_f32 v144, 0xbf1a4643, v131 :: v_dual_add_f32 v81, v83, v81
	v_add_f32_e32 v83, v179, v141
	v_dual_mul_f32 v139, 0xbf763a35, v116 :: v_dual_add_f32 v86, v87, v86
	v_add_f32_e32 v87, v172, v158
	v_dual_mul_f32 v145, 0xbf65296c, v119 :: v_dual_add_f32 v82, v85, v82
	s_delay_alu instid0(VALU_DEP_4) | instskip(SKIP_1) | instid1(VALU_DEP_4)
	v_add_f32_e32 v81, v83, v81
	v_add_f32_e32 v83, v206, v147
	v_dual_add_f32 v79, v87, v86 :: v_dual_add_f32 v132, v138, v132
	v_sub_f32_e32 v138, v143, v189
	v_mul_f32_e32 v188, 0xbf2c7751, v116
	v_mul_f32_e32 v170, 0x3f3d2fb0, v129
	v_sub_f32_e32 v86, v152, v157
	s_delay_alu instid0(VALU_DEP_4) | instskip(SKIP_4) | instid1(VALU_DEP_4)
	v_dual_add_f32 v81, v83, v81 :: v_dual_add_f32 v132, v138, v132
	v_dual_sub_f32 v138, v149, v195 :: v_dual_fmamk_f32 v83, v100, 0xbe8c1d8e, v139
	v_mul_f32_e32 v141, 0x3f06c442, v117
	v_mul_f32_e32 v143, 0x3f2c7751, v118
	v_dual_add_f32 v82, v84, v82 :: v_dual_mul_f32 v147, 0xbe3c28d5, v121
	v_add_f32_e32 v132, v138, v132
	v_dual_sub_f32 v138, v155, v200 :: v_dual_fmamk_f32 v133, v109, 0xbf2c7751, v170
	v_add_f32_e32 v83, v75, v83
	v_mul_f32_e32 v149, 0x3f7ee86f, v123
	v_mul_f32_e32 v146, 0x3dbcf732, v120
	s_delay_alu instid0(VALU_DEP_4)
	v_add_f32_e32 v132, v138, v132
	v_mul_f32_e32 v138, 0xbf7ba420, v129
	v_mul_f32_e32 v135, 0x3ee437d1, v126
	;; [unrolled: 1-line block ×4, first 2 shown]
	v_add_f32_e32 v132, v134, v132
	v_dual_sub_f32 v134, v162, v161 :: v_dual_mul_f32 v161, 0x3eb8f4ab, v119
	v_mul_f32_e32 v150, 0xbe8c1d8e, v124
	v_mul_f32_e32 v154, 0x3ee437d1, v129
	s_delay_alu instid0(VALU_DEP_3) | instskip(NEXT) | instid1(VALU_DEP_4)
	v_dual_mul_f32 v159, 0x3f763a35, v118 :: v_dual_add_f32 v80, v134, v132
	v_fmamk_f32 v132, v106, 0x3f6eb680, v161
	v_mul_f32_e32 v148, 0xbf7ba420, v122
	v_add_f32_e32 v82, v86, v82
	v_fmamk_f32 v86, v102, 0xbf59a7d5, v141
	v_mul_f32_e32 v151, 0xbeb8f4ab, v125
	v_mul_f32_e32 v153, 0xbf4c4adb, v127
	v_fmamk_f32 v87, v103, 0x3e3c28d5, v148
	s_delay_alu instid0(VALU_DEP_4) | instskip(SKIP_4) | instid1(VALU_DEP_4)
	v_dual_mul_f32 v140, 0x3dbcf732, v128 :: v_dual_add_f32 v83, v86, v83
	v_fmamk_f32 v86, v104, 0x3f3d2fb0, v143
	v_mul_f32_e32 v134, 0xbe8c1d8e, v120
	v_mul_f32_e32 v156, 0xbf59a7d5, v128
	v_add_f32_e32 v60, v60, v75
	v_dual_mul_f32 v158, 0xbf1a4643, v130 :: v_dual_add_f32 v83, v86, v83
	s_delay_alu instid0(VALU_DEP_4) | instskip(SKIP_1) | instid1(VALU_DEP_4)
	v_fmamk_f32 v85, v101, 0x3f763a35, v134
	v_fmamk_f32 v86, v106, 0x3ee437d1, v145
	v_dual_add_f32 v60, v62, v60 :: v_dual_mul_f32 v179, 0x3f2c7751, v121
	v_mul_f32_e32 v157, 0xbe3c28d5, v117
	s_delay_alu instid0(VALU_DEP_3) | instskip(SKIP_2) | instid1(VALU_DEP_4)
	v_dual_add_f32 v84, v76, v85 :: v_dual_add_f32 v83, v86, v83
	v_fmamk_f32 v85, v103, 0xbf06c442, v136
	v_fmamk_f32 v86, v108, 0xbf7ba420, v147
	;; [unrolled: 1-line block ×3, first 2 shown]
	v_mul_f32_e32 v155, 0xbf7ee86f, v116
	v_mul_f32_e32 v160, 0x3f3d2fb0, v131
	v_add_f32_e32 v84, v85, v84
	v_fmamk_f32 v85, v105, 0xbf2c7751, v137
	v_add_f32_e32 v83, v86, v83
	v_fmamk_f32 v86, v110, 0x3dbcf732, v149
	v_dual_add_f32 v52, v52, v60 :: v_dual_fmac_f32 v137, 0x3f2c7751, v105
	s_delay_alu instid0(VALU_DEP_4) | instskip(NEXT) | instid1(VALU_DEP_3)
	v_dual_add_f32 v84, v85, v84 :: v_dual_fmamk_f32 v85, v107, 0x3f65296c, v135
	v_dual_add_f32 v83, v86, v83 :: v_dual_fmamk_f32 v86, v112, 0x3f6eb680, v151
	v_mul_f32_e32 v163, 0xbf65296c, v121
	v_mul_f32_e32 v180, 0x3dbcf732, v122
	s_delay_alu instid0(VALU_DEP_4) | instskip(SKIP_4) | instid1(VALU_DEP_4)
	v_add_f32_e32 v84, v85, v84
	v_fmamk_f32 v85, v109, 0x3e3c28d5, v138
	v_add_f32_e32 v83, v86, v83
	v_fmamk_f32 v86, v114, 0xbf1a4643, v153
	v_dual_add_f32 v52, v54, v52 :: v_dual_fmac_f32 v135, 0xbf65296c, v107
	v_dual_add_f32 v84, v85, v84 :: v_dual_fmamk_f32 v85, v111, 0xbf7ee86f, v140
	s_delay_alu instid0(VALU_DEP_3) | instskip(SKIP_2) | instid1(VALU_DEP_4)
	v_dual_add_f32 v83, v86, v83 :: v_dual_fmamk_f32 v86, v100, 0x3dbcf732, v155
	v_mul_f32_e32 v173, 0xbf4c4adb, v117
	v_mul_f32_e32 v164, 0xbf1a4643, v122
	v_add_f32_e32 v84, v85, v84
	s_delay_alu instid0(VALU_DEP_4) | instskip(SKIP_2) | instid1(VALU_DEP_3)
	v_dual_fmamk_f32 v85, v113, 0x3eb8f4ab, v142 :: v_dual_add_f32 v86, v75, v86
	v_fmamk_f32 v182, v103, 0x3f7ee86f, v180
	v_dual_mul_f32 v165, 0xbf06c442, v123 :: v_dual_add_f32 v52, v56, v52
	v_dual_add_f32 v84, v85, v84 :: v_dual_fmamk_f32 v85, v115, 0x3f4c4adb, v144
	s_delay_alu instid0(VALU_DEP_4) | instskip(SKIP_1) | instid1(VALU_DEP_4)
	v_add_f32_e32 v86, v88, v86
	v_fmamk_f32 v88, v104, 0xbe8c1d8e, v159
	v_dual_mul_f32 v167, 0x3f4c4adb, v125 :: v_dual_add_f32 v52, v58, v52
	s_delay_alu instid0(VALU_DEP_4) | instskip(NEXT) | instid1(VALU_DEP_3)
	v_add_f32_e32 v84, v85, v84
	v_dual_fmamk_f32 v85, v101, 0x3f7ee86f, v146 :: v_dual_add_f32 v88, v88, v86
	v_mul_f32_e32 v187, 0xbf59a7d5, v129
	v_mul_f32_e32 v122, 0x3f3d2fb0, v122
	;; [unrolled: 1-line block ×3, first 2 shown]
	s_delay_alu instid0(VALU_DEP_4) | instskip(SKIP_2) | instid1(VALU_DEP_3)
	v_add_f32_e32 v85, v76, v85
	v_mul_f32_e32 v183, 0xbf1a4643, v124
	v_dual_add_f32 v48, v48, v52 :: v_dual_mul_f32 v175, 0x3e3c28d5, v118
	v_dual_mul_f32 v166, 0xbf7ba420, v124 :: v_dual_add_f32 v85, v87, v85
	s_delay_alu instid0(VALU_DEP_2) | instskip(SKIP_2) | instid1(VALU_DEP_3)
	v_dual_fmamk_f32 v87, v105, 0xbf763a35, v150 :: v_dual_add_f32 v48, v50, v48
	v_mul_f32_e32 v50, 0xbf763a35, v121
	v_mul_f32_e32 v177, 0x3f763a35, v119
	v_dual_mul_f32 v168, 0xbe8c1d8e, v126 :: v_dual_add_f32 v85, v87, v85
	s_delay_alu instid0(VALU_DEP_4) | instskip(NEXT) | instid1(VALU_DEP_4)
	v_dual_fmamk_f32 v87, v107, 0xbeb8f4ab, v152 :: v_dual_add_f32 v44, v44, v48
	v_fmamk_f32 v48, v108, 0xbe8c1d8e, v50
	v_fmamk_f32 v198, v103, 0x3f2c7751, v122
	v_mul_f32_e32 v195, 0xbe3c28d5, v119
	s_delay_alu instid0(VALU_DEP_4)
	v_add_f32_e32 v85, v87, v85
	v_fmamk_f32 v87, v109, 0x3f65296c, v154
	v_mul_f32_e32 v178, 0x3f3d2fb0, v120
	v_mul_f32_e32 v169, 0x3f2c7751, v127
	v_fmamk_f32 v196, v106, 0xbf7ba420, v195
	v_mul_f32_e32 v191, 0x3ee437d1, v130
	v_add_f32_e32 v85, v87, v85
	v_fmamk_f32 v87, v111, 0x3f06c442, v156
	v_mul_f32_e32 v171, 0xbf65296c, v116
	v_mul_f32_e32 v162, 0x3ee437d1, v120
	;; [unrolled: 1-line block ×4, first 2 shown]
	v_add_f32_e32 v85, v87, v85
	v_fmamk_f32 v87, v113, 0xbf4c4adb, v158
	v_mul_f32_e32 v181, 0xbeb8f4ab, v123
	v_mul_f32_e32 v172, 0x3f6eb680, v128
	;; [unrolled: 1-line block ×3, first 2 shown]
	s_delay_alu instid0(VALU_DEP_4) | instskip(SKIP_2) | instid1(VALU_DEP_4)
	v_dual_fmamk_f32 v56, v102, 0x3f3d2fb0, v54 :: v_dual_add_f32 v85, v87, v85
	v_fmamk_f32 v87, v115, 0xbf2c7751, v160
	v_fmamk_f32 v192, v102, 0x3dbcf732, v190
	;; [unrolled: 1-line block ×3, first 2 shown]
	v_mul_f32_e32 v184, 0xbf7ee86f, v125
	v_mul_f32_e32 v174, 0x3dbcf732, v130
	v_dual_add_f32 v86, v87, v85 :: v_dual_add_f32 v87, v132, v88
	v_fmamk_f32 v88, v108, 0x3ee437d1, v163
	v_fmamk_f32 v132, v103, 0x3f4c4adb, v164
	;; [unrolled: 1-line block ×3, first 2 shown]
	v_mul_f32_e32 v186, 0xbf06c442, v127
	v_mul_f32_e32 v176, 0xbf59a7d5, v131
	v_dual_add_f32 v87, v88, v87 :: v_dual_fmamk_f32 v88, v110, 0xbf59a7d5, v165
	s_delay_alu instid0(VALU_DEP_4)
	v_add_f32_e32 v85, v76, v85
	v_add_f32_e32 v61, v61, v76
	v_mul_f32_e32 v189, 0xbe8c1d8e, v128
	v_mul_f32_e32 v193, 0xbf4c4adb, v118
	v_add_f32_e32 v87, v88, v87
	v_fmamk_f32 v88, v112, 0xbf1a4643, v167
	v_dual_add_f32 v85, v132, v85 :: v_dual_fmamk_f32 v132, v105, 0xbe3c28d5, v166
	v_add_f32_e32 v61, v63, v61
	v_mul_f32_e32 v197, 0x3f06c442, v121
	s_delay_alu instid0(VALU_DEP_4) | instskip(NEXT) | instid1(VALU_DEP_4)
	v_dual_add_f32 v87, v88, v87 :: v_dual_fmamk_f32 v88, v114, 0x3f3d2fb0, v169
	v_dual_add_f32 v85, v132, v85 :: v_dual_fmamk_f32 v132, v107, 0xbf763a35, v168
	s_delay_alu instid0(VALU_DEP_4) | instskip(SKIP_2) | instid1(VALU_DEP_4)
	v_dual_add_f32 v53, v53, v61 :: v_dual_fmac_f32 v144, 0xbf4c4adb, v115
	v_mul_f32_e32 v116, 0xbeb8f4ab, v116
	v_mul_f32_e32 v194, 0x3f6eb680, v131
	v_add_f32_e32 v132, v132, v85
	v_add_f32_e32 v85, v88, v87
	v_dual_add_f32 v53, v55, v53 :: v_dual_mul_f32 v124, 0x3ee437d1, v124
	s_delay_alu instid0(VALU_DEP_3) | instskip(NEXT) | instid1(VALU_DEP_2)
	v_dual_mul_f32 v199, 0x3f65296c, v125 :: v_dual_add_f32 v88, v133, v132
	v_dual_fmamk_f32 v132, v111, 0x3eb8f4ab, v172 :: v_dual_add_f32 v53, v57, v53
	v_mul_f32_e32 v126, 0x3dbcf732, v126
	v_fmac_f32_e32 v140, 0x3f7ee86f, v111
	v_fmac_f32_e32 v134, 0xbf763a35, v101
	s_delay_alu instid0(VALU_DEP_4) | instskip(SKIP_4) | instid1(VALU_DEP_4)
	v_add_f32_e32 v88, v132, v88
	v_dual_fmamk_f32 v132, v113, 0x3f7ee86f, v174 :: v_dual_add_f32 v53, v59, v53
	v_add_f32_e32 v44, v46, v44
	v_fmac_f32_e32 v138, 0xbe3c28d5, v109
	v_fmac_f32_e32 v142, 0xbeb8f4ab, v113
	v_add_f32_e32 v88, v132, v88
	v_dual_fmamk_f32 v132, v115, 0x3f06c442, v176 :: v_dual_add_f32 v49, v49, v53
	v_mul_f32_e32 v120, 0x3f6eb680, v120
	v_mul_f32_e32 v59, 0xbf65296c, v118
	v_fmac_f32_e32 v146, 0xbf7ee86f, v101
	s_delay_alu instid0(VALU_DEP_4) | instskip(SKIP_4) | instid1(VALU_DEP_4)
	v_dual_add_f32 v88, v132, v88 :: v_dual_add_f32 v49, v51, v49
	v_fmamk_f32 v132, v101, 0x3f2c7751, v178
	v_fmac_f32_e32 v178, 0xbf2c7751, v101
	v_fmac_f32_e32 v148, 0xbe3c28d5, v103
	;; [unrolled: 1-line block ×3, first 2 shown]
	v_dual_add_f32 v49, v45, v49 :: v_dual_add_f32 v132, v76, v132
	v_fmac_f32_e32 v152, 0x3eb8f4ab, v107
	v_fmac_f32_e32 v154, 0xbf65296c, v109
	v_fmac_f32_e32 v156, 0xbf06c442, v111
	v_fmac_f32_e32 v158, 0x3f4c4adb, v113
	v_add_f32_e32 v132, v182, v132
	v_fmamk_f32 v182, v105, 0x3f4c4adb, v183
	v_fmac_f32_e32 v183, 0xbf4c4adb, v105
	v_mul_f32_e32 v63, 0xbf1a4643, v128
	v_add_f32_e32 v47, v47, v49
	s_delay_alu instid0(VALU_DEP_4) | instskip(SKIP_1) | instid1(VALU_DEP_4)
	v_dual_mul_f32 v129, 0xbe8c1d8e, v129 :: v_dual_add_f32 v132, v182, v132
	v_fmamk_f32 v182, v107, 0x3e3c28d5, v185
	v_fmamk_f32 v61, v111, 0x3f4c4adb, v63
	s_delay_alu instid0(VALU_DEP_4) | instskip(NEXT) | instid1(VALU_DEP_4)
	v_add_f32_e32 v41, v41, v47
	v_fmamk_f32 v201, v109, 0x3f763a35, v129
	s_delay_alu instid0(VALU_DEP_4)
	v_dual_mul_f32 v49, 0xbf4c4adb, v123 :: v_dual_add_f32 v132, v182, v132
	v_fmamk_f32 v182, v109, 0xbf06c442, v187
	v_fmamk_f32 v133, v102, 0xbf1a4643, v173
	v_add_f32_e32 v41, v74, v41
	v_fmac_f32_e32 v187, 0x3f06c442, v109
	v_fmac_f32_e32 v164, 0xbf4c4adb, v103
	v_add_f32_e32 v132, v182, v132
	s_delay_alu instid0(VALU_DEP_4) | instskip(SKIP_2) | instid1(VALU_DEP_3)
	v_dual_fmamk_f32 v182, v111, 0xbf763a35, v189 :: v_dual_add_f32 v41, v72, v41
	v_mul_f32_e32 v200, 0x3eb8f4ab, v127
	v_fmac_f32_e32 v129, 0xbf763a35, v109
	v_dual_fmac_f32 v63, 0xbf4c4adb, v111 :: v_dual_add_f32 v132, v182, v132
	s_delay_alu instid0(VALU_DEP_4) | instskip(SKIP_2) | instid1(VALU_DEP_3)
	v_dual_add_f32 v41, v70, v41 :: v_dual_fmamk_f32 v182, v113, 0xbf65296c, v191
	v_fmamk_f32 v87, v100, 0x3ee437d1, v171
	v_fmac_f32_e32 v162, 0xbf65296c, v101
	v_dual_add_f32 v1, v1, v41 :: v_dual_add_f32 v132, v182, v132
	s_delay_alu instid0(VALU_DEP_3) | instskip(SKIP_1) | instid1(VALU_DEP_3)
	v_add_f32_e32 v87, v75, v87
	v_fmamk_f32 v182, v115, 0xbeb8f4ab, v194
	v_add_f32_e32 v1, v3, v1
	s_delay_alu instid0(VALU_DEP_3) | instskip(SKIP_1) | instid1(VALU_DEP_1)
	v_add_f32_e32 v87, v133, v87
	v_fmamk_f32 v133, v104, 0xbf7ba420, v175
	v_dual_fmac_f32 v166, 0x3e3c28d5, v105 :: v_dual_add_f32 v87, v133, v87
	v_fmamk_f32 v133, v106, 0xbe8c1d8e, v177
	v_fmac_f32_e32 v168, 0x3f763a35, v107
	s_delay_alu instid0(VALU_DEP_2) | instskip(SKIP_2) | instid1(VALU_DEP_2)
	v_add_f32_e32 v87, v133, v87
	v_fmamk_f32 v133, v108, 0x3f3d2fb0, v179
	v_fmac_f32_e32 v160, 0x3f2c7751, v115
	v_add_f32_e32 v87, v133, v87
	v_fmamk_f32 v133, v110, 0x3f6eb680, v181
	v_fmac_f32_e32 v172, 0xbeb8f4ab, v111
	s_delay_alu instid0(VALU_DEP_2) | instskip(SKIP_1) | instid1(VALU_DEP_1)
	v_add_f32_e32 v87, v133, v87
	v_fmamk_f32 v133, v112, 0x3dbcf732, v184
	v_dual_fmac_f32 v174, 0xbf7ee86f, v113 :: v_dual_add_f32 v87, v133, v87
	v_fmamk_f32 v133, v114, 0xbf59a7d5, v186
	v_fmac_f32_e32 v176, 0xbf06c442, v115
	v_fmac_f32_e32 v136, 0x3f06c442, v103
	s_delay_alu instid0(VALU_DEP_3) | instskip(SKIP_2) | instid1(VALU_DEP_2)
	v_add_f32_e32 v87, v133, v87
	v_fmamk_f32 v133, v100, 0x3f3d2fb0, v188
	v_fmac_f32_e32 v170, 0x3f2c7751, v109
	v_add_f32_e32 v133, v75, v133
	s_delay_alu instid0(VALU_DEP_1) | instskip(SKIP_1) | instid1(VALU_DEP_1)
	v_add_f32_e32 v133, v192, v133
	v_fmamk_f32 v192, v104, 0xbf1a4643, v193
	v_dual_add_f32 v192, v192, v133 :: v_dual_add_f32 v133, v182, v132
	v_fmamk_f32 v132, v101, 0x3eb8f4ab, v120
	v_fmac_f32_e32 v185, 0xbe3c28d5, v107
	v_fmac_f32_e32 v180, 0xbf7ee86f, v103
	;; [unrolled: 1-line block ×3, first 2 shown]
	s_delay_alu instid0(VALU_DEP_4) | instskip(NEXT) | instid1(VALU_DEP_1)
	v_add_f32_e32 v132, v76, v132
	v_add_f32_e32 v132, v198, v132
	v_fmamk_f32 v198, v105, 0x3f65296c, v124
	v_fmac_f32_e32 v124, 0xbf65296c, v105
	s_delay_alu instid0(VALU_DEP_2) | instskip(SKIP_1) | instid1(VALU_DEP_1)
	v_add_f32_e32 v132, v198, v132
	v_fmamk_f32 v198, v107, 0x3f7ee86f, v126
	v_add_f32_e32 v198, v198, v132
	s_delay_alu instid0(VALU_DEP_1) | instskip(NEXT) | instid1(VALU_DEP_1)
	v_add_f32_e32 v128, v201, v198
	v_add_f32_e32 v55, v61, v128
	s_delay_alu instid0(VALU_DEP_1) | instskip(SKIP_1) | instid1(VALU_DEP_1)
	v_add_f32_e32 v55, v60, v55
	v_mul_f32_e32 v60, 0xbf7ba420, v131
	v_fmamk_f32 v51, v115, 0x3e3c28d5, v60
	s_delay_alu instid0(VALU_DEP_1) | instskip(SKIP_4) | instid1(VALU_DEP_4)
	v_dual_add_f32 v45, v51, v55 :: v_dual_add_f32 v182, v196, v192
	v_fmamk_f32 v192, v108, 0xbf59a7d5, v197
	v_mul_f32_e32 v196, 0x3f763a35, v123
	v_dual_add_f32 v40, v40, v44 :: v_dual_fmac_f32 v191, 0x3f65296c, v113
	v_fma_f32 v55, 0xbf1a4643, v102, -v173
	v_add_f32_e32 v182, v192, v182
	v_dual_add_f32 v46, v76, v134 :: v_dual_fmac_f32 v189, 0x3f763a35, v111
	s_delay_alu instid0(VALU_DEP_4) | instskip(SKIP_1) | instid1(VALU_DEP_3)
	v_add_f32_e32 v40, v73, v40
	v_fmamk_f32 v192, v110, 0xbe8c1d8e, v196
	v_add_f32_e32 v44, v136, v46
	s_delay_alu instid0(VALU_DEP_3) | instskip(NEXT) | instid1(VALU_DEP_3)
	v_add_f32_e32 v40, v71, v40
	v_add_f32_e32 v182, v192, v182
	s_delay_alu instid0(VALU_DEP_3) | instskip(NEXT) | instid1(VALU_DEP_3)
	v_add_f32_e32 v44, v137, v44
	v_add_f32_e32 v40, v69, v40
	s_delay_alu instid0(VALU_DEP_2) | instskip(SKIP_1) | instid1(VALU_DEP_3)
	v_add_f32_e32 v44, v135, v44
	v_fmamk_f32 v192, v112, 0x3ee437d1, v199
	v_add_f32_e32 v0, v0, v40
	s_delay_alu instid0(VALU_DEP_2) | instskip(SKIP_1) | instid1(VALU_DEP_2)
	v_dual_add_f32 v41, v138, v44 :: v_dual_add_f32 v182, v192, v182
	v_fmamk_f32 v192, v114, 0x3f6eb680, v200
	v_dual_add_f32 v0, v2, v0 :: v_dual_add_f32 v3, v140, v41
	v_fma_f32 v41, 0xbf59a7d5, v102, -v141
	s_delay_alu instid0(VALU_DEP_2) | instskip(NEXT) | instid1(VALU_DEP_1)
	v_add_f32_e32 v2, v142, v3
	v_add_f32_e32 v3, v144, v2
	v_fmamk_f32 v61, v100, 0x3f6eb680, v116
	v_fma_f32 v2, 0x3dbcf732, v100, -v155
	s_delay_alu instid0(VALU_DEP_2) | instskip(NEXT) | instid1(VALU_DEP_1)
	v_dual_fmac_f32 v194, 0x3eb8f4ab, v115 :: v_dual_add_f32 v57, v75, v61
	v_dual_add_f32 v2, v75, v2 :: v_dual_add_f32 v53, v56, v57
	v_fmamk_f32 v56, v104, 0x3ee437d1, v59
	v_mul_f32_e32 v57, 0xbf7ee86f, v119
	v_fma_f32 v58, 0x3dbcf732, v102, -v190
	s_delay_alu instid0(VALU_DEP_2) | instskip(NEXT) | instid1(VALU_DEP_1)
	v_dual_add_f32 v52, v56, v53 :: v_dual_fmamk_f32 v53, v106, 0x3dbcf732, v57
	v_dual_fmac_f32 v126, 0xbf7ee86f, v107 :: v_dual_add_f32 v51, v53, v52
	v_fma_f32 v52, 0xbf59a7d5, v110, -v165
	v_fmac_f32_e32 v122, 0xbf2c7751, v103
	s_delay_alu instid0(VALU_DEP_3) | instskip(SKIP_2) | instid1(VALU_DEP_3)
	v_dual_add_f32 v47, v48, v51 :: v_dual_fmamk_f32 v48, v110, 0xbf1a4643, v49
	v_dual_mul_f32 v51, 0xbe3c28d5, v127 :: v_dual_add_f32 v132, v192, v182
	v_fma_f32 v49, 0xbf1a4643, v110, -v49
	v_add_f32_e32 v46, v48, v47
	v_mul_f32_e32 v48, 0xbf06c442, v125
	s_delay_alu instid0(VALU_DEP_1) | instskip(SKIP_1) | instid1(VALU_DEP_2)
	v_fmamk_f32 v47, v112, 0xbf59a7d5, v48
	v_fmac_f32_e32 v62, 0xbf06c442, v113
	v_dual_add_f32 v46, v47, v46 :: v_dual_fmamk_f32 v47, v114, 0xbf7ba420, v51
	s_delay_alu instid0(VALU_DEP_1) | instskip(SKIP_2) | instid1(VALU_DEP_2)
	v_add_f32_e32 v44, v47, v46
	v_fma_f32 v46, 0xbe8c1d8e, v100, -v139
	v_fma_f32 v47, 0xbf7ba420, v102, -v157
	v_add_f32_e32 v40, v75, v46
	v_add_f32_e32 v46, v76, v146
	s_delay_alu instid0(VALU_DEP_3) | instskip(SKIP_1) | instid1(VALU_DEP_4)
	v_add_f32_e32 v2, v47, v2
	v_fma_f32 v47, 0xbe8c1d8e, v104, -v159
	v_add_f32_e32 v40, v41, v40
	v_fma_f32 v41, 0x3f3d2fb0, v104, -v143
	v_add_f32_e32 v46, v148, v46
	s_delay_alu instid0(VALU_DEP_4) | instskip(SKIP_1) | instid1(VALU_DEP_4)
	v_add_f32_e32 v2, v47, v2
	v_fma_f32 v47, 0x3f6eb680, v106, -v161
	v_add_f32_e32 v40, v41, v40
	v_fma_f32 v41, 0x3ee437d1, v106, -v145
	v_add_f32_e32 v46, v150, v46
	s_delay_alu instid0(VALU_DEP_4) | instskip(SKIP_1) | instid1(VALU_DEP_4)
	v_add_f32_e32 v2, v47, v2
	v_fma_f32 v47, 0x3ee437d1, v108, -v163
	v_add_f32_e32 v40, v41, v40
	v_fma_f32 v41, 0xbf7ba420, v108, -v147
	v_add_f32_e32 v46, v152, v46
	s_delay_alu instid0(VALU_DEP_2) | instskip(SKIP_1) | instid1(VALU_DEP_3)
	v_dual_add_f32 v47, v47, v2 :: v_dual_add_f32 v40, v41, v40
	v_fma_f32 v41, 0x3dbcf732, v110, -v149
	v_add_f32_e32 v46, v154, v46
	s_delay_alu instid0(VALU_DEP_2) | instskip(SKIP_1) | instid1(VALU_DEP_3)
	v_add_f32_e32 v40, v41, v40
	v_fma_f32 v41, 0x3f6eb680, v112, -v151
	v_add_f32_e32 v46, v156, v46
	s_delay_alu instid0(VALU_DEP_2) | instskip(SKIP_1) | instid1(VALU_DEP_1)
	v_add_f32_e32 v40, v41, v40
	v_fma_f32 v41, 0xbf1a4643, v114, -v153
	v_add_f32_e32 v2, v41, v40
	s_delay_alu instid0(VALU_DEP_4) | instskip(SKIP_3) | instid1(VALU_DEP_4)
	v_add_f32_e32 v40, v158, v46
	v_add_f32_e32 v46, v52, v47
	v_fma_f32 v47, 0xbf1a4643, v112, -v167
	v_add_f32_e32 v52, v76, v162
	v_add_f32_e32 v41, v160, v40
	v_fma_f32 v40, 0x3ee437d1, v100, -v171
	s_delay_alu instid0(VALU_DEP_4) | instskip(SKIP_4) | instid1(VALU_DEP_4)
	v_add_f32_e32 v46, v47, v46
	v_fma_f32 v47, 0x3f3d2fb0, v114, -v169
	v_add_f32_e32 v52, v164, v52
	v_fma_f32 v54, 0x3f3d2fb0, v102, -v54
	v_add_f32_e32 v53, v75, v40
	v_add_f32_e32 v40, v47, v46
	s_delay_alu instid0(VALU_DEP_4) | instskip(SKIP_1) | instid1(VALU_DEP_4)
	v_add_f32_e32 v46, v166, v52
	v_fma_f32 v52, 0xbf7ba420, v104, -v175
	v_add_f32_e32 v47, v55, v53
	v_add_f32_e32 v53, v76, v178
	v_fma_f32 v55, 0x3dbcf732, v112, -v184
	v_add_f32_e32 v46, v168, v46
	v_fmac_f32_e32 v60, 0xbe3c28d5, v115
	v_add_f32_e32 v47, v52, v47
	v_fma_f32 v52, 0xbe8c1d8e, v106, -v177
	s_delay_alu instid0(VALU_DEP_4) | instskip(NEXT) | instid1(VALU_DEP_2)
	v_dual_add_f32 v53, v180, v53 :: v_dual_add_f32 v46, v170, v46
	v_add_f32_e32 v47, v52, v47
	v_fma_f32 v52, 0x3f3d2fb0, v108, -v179
	s_delay_alu instid0(VALU_DEP_3) | instskip(SKIP_1) | instid1(VALU_DEP_3)
	v_dual_add_f32 v53, v183, v53 :: v_dual_add_f32 v46, v172, v46
	v_fma_f32 v50, 0xbe8c1d8e, v108, -v50
	v_add_f32_e32 v47, v52, v47
	v_fma_f32 v52, 0x3f6eb680, v110, -v181
	s_delay_alu instid0(VALU_DEP_4) | instskip(NEXT) | instid1(VALU_DEP_1)
	v_dual_add_f32 v53, v185, v53 :: v_dual_add_f32 v46, v174, v46
	v_dual_add_f32 v52, v52, v47 :: v_dual_add_f32 v53, v187, v53
	s_delay_alu instid0(VALU_DEP_2) | instskip(SKIP_1) | instid1(VALU_DEP_3)
	v_add_f32_e32 v47, v176, v46
	v_fma_f32 v46, 0x3f3d2fb0, v100, -v188
	v_add_f32_e32 v52, v55, v52
	v_fma_f32 v55, 0xbf59a7d5, v114, -v186
	s_delay_alu instid0(VALU_DEP_3) | instskip(NEXT) | instid1(VALU_DEP_2)
	v_dual_add_f32 v53, v189, v53 :: v_dual_add_f32 v56, v75, v46
	v_add_f32_e32 v46, v55, v52
	s_delay_alu instid0(VALU_DEP_2) | instskip(SKIP_1) | instid1(VALU_DEP_4)
	v_add_f32_e32 v52, v191, v53
	v_fma_f32 v53, 0x3f6eb680, v100, -v116
	v_add_f32_e32 v55, v58, v56
	v_fma_f32 v56, 0xbf1a4643, v104, -v193
	s_delay_alu instid0(VALU_DEP_3) | instskip(NEXT) | instid1(VALU_DEP_2)
	v_dual_add_f32 v58, v76, v120 :: v_dual_add_f32 v53, v75, v53
	v_add_f32_e32 v55, v56, v55
	v_fma_f32 v56, 0xbf7ba420, v106, -v195
	s_delay_alu instid0(VALU_DEP_3) | instskip(NEXT) | instid1(VALU_DEP_4)
	v_add_f32_e32 v58, v122, v58
	v_add_f32_e32 v53, v54, v53
	v_fma_f32 v54, 0x3ee437d1, v104, -v59
	v_fma_f32 v48, 0xbf59a7d5, v112, -v48
	v_add_f32_e32 v55, v56, v55
	v_fma_f32 v56, 0xbf59a7d5, v108, -v197
	s_delay_alu instid0(VALU_DEP_4) | instskip(SKIP_1) | instid1(VALU_DEP_3)
	v_dual_add_f32 v58, v124, v58 :: v_dual_add_f32 v53, v54, v53
	v_fma_f32 v54, 0x3dbcf732, v106, -v57
	v_add_f32_e32 v55, v56, v55
	v_fma_f32 v56, 0xbe8c1d8e, v110, -v196
	s_delay_alu instid0(VALU_DEP_4) | instskip(NEXT) | instid1(VALU_DEP_2)
	v_add_f32_e32 v57, v126, v58
	v_dual_add_f32 v53, v54, v53 :: v_dual_add_f32 v54, v56, v55
	v_fma_f32 v55, 0x3ee437d1, v112, -v199
	s_delay_alu instid0(VALU_DEP_3) | instskip(NEXT) | instid1(VALU_DEP_3)
	v_add_f32_e32 v56, v129, v57
	v_add_f32_e32 v50, v50, v53
	v_fma_f32 v57, 0xbf7ba420, v114, -v51
	s_delay_alu instid0(VALU_DEP_4) | instskip(SKIP_1) | instid1(VALU_DEP_4)
	v_add_f32_e32 v53, v55, v54
	v_and_b32_e32 v55, 0xffff, v92
	v_dual_add_f32 v54, v63, v56 :: v_dual_add_f32 v49, v49, v50
	v_fma_f32 v50, 0x3f6eb680, v114, -v200
	s_delay_alu instid0(VALU_DEP_3) | instskip(NEXT) | instid1(VALU_DEP_3)
	v_lshl_add_u32 v55, v55, 3, v91
	v_add_f32_e32 v54, v62, v54
	s_delay_alu instid0(VALU_DEP_4) | instskip(NEXT) | instid1(VALU_DEP_2)
	v_dual_add_f32 v56, v48, v49 :: v_dual_add_f32 v49, v194, v52
	v_dual_add_f32 v48, v50, v53 :: v_dual_add_f32 v51, v60, v54
	s_delay_alu instid0(VALU_DEP_2)
	v_add_f32_e32 v50, v57, v56
	ds_store_2addr_b64 v55, v[0:1], v[44:45] offset1:1
	ds_store_2addr_b64 v55, v[132:133], v[87:88] offset0:2 offset1:3
	ds_store_2addr_b64 v55, v[85:86], v[83:84] offset0:4 offset1:5
	;; [unrolled: 1-line block ×7, first 2 shown]
	ds_store_b64 v55, v[50:51] offset:128
.LBB0_17:
	s_wait_alu 0xfffe
	s_or_b32 exec_lo, exec_lo, s1
	v_add_nc_u32_e32 v44, 0x800, v94
	v_add_nc_u32_e32 v45, 0x400, v94
	global_wb scope:SCOPE_SE
	s_wait_dscnt 0x0
	s_barrier_signal -1
	s_barrier_wait -1
	global_inv scope:SCOPE_SE
	ds_load_2addr_b64 v[40:43], v94 offset1:51
	ds_load_2addr_b64 v[0:3], v94 offset0:102 offset1:187
	ds_load_2addr_b64 v[48:51], v44 offset0:118 offset1:169
	;; [unrolled: 1-line block ×3, first 2 shown]
	ds_load_b64 v[52:53], v94 offset:3808
	s_and_saveexec_b32 s1, s0
	s_cbranch_execz .LBB0_19
; %bb.18:
	v_add_nc_u32_e32 v54, 0xa00, v94
	ds_load_b64 v[77:78], v94 offset:1224
	ds_load_2addr_b64 v[64:67], v54 offset0:20 offset1:207
.LBB0_19:
	s_wait_alu 0xfffe
	s_or_b32 exec_lo, exec_lo, s1
	s_wait_dscnt 0x2
	v_dual_mul_f32 v54, v25, v3 :: v_dual_mul_f32 v55, v27, v49
	v_mul_f32_e32 v25, v25, v2
	v_mul_f32_e32 v27, v27, v48
	global_wb scope:SCOPE_SE
	s_wait_dscnt 0x0
	v_fmac_f32_e32 v54, v24, v2
	v_mul_f32_e32 v2, v17, v44
	v_fma_f32 v3, v24, v3, -v25
	v_dual_mul_f32 v25, v19, v51 :: v_dual_mul_f32 v24, v17, v45
	v_fmac_f32_e32 v55, v26, v48
	v_fma_f32 v17, v26, v49, -v27
	v_fma_f32 v26, v16, v45, -v2
	v_mul_f32_e32 v27, v9, v47
	v_dual_mul_f32 v2, v9, v46 :: v_dual_mul_f32 v9, v11, v52
	v_dual_fmac_f32 v24, v16, v44 :: v_dual_mul_f32 v19, v19, v50
	s_delay_alu instid0(VALU_DEP_3) | instskip(NEXT) | instid1(VALU_DEP_3)
	v_dual_mul_f32 v44, v11, v53 :: v_dual_fmac_f32 v27, v8, v46
	v_fma_f32 v45, v8, v47, -v2
	v_add_f32_e32 v2, v54, v55
	v_add_f32_e32 v8, v40, v54
	v_fma_f32 v46, v10, v53, -v9
	v_add_f32_e32 v9, v3, v17
	v_fmac_f32_e32 v25, v18, v50
	v_fma_f32 v19, v18, v51, -v19
	v_add_f32_e32 v8, v8, v55
	v_fma_f32 v2, -0.5, v2, v40
	v_dual_sub_f32 v11, v3, v17 :: v_dual_add_f32 v16, v41, v3
	v_fma_f32 v3, -0.5, v9, v41
	v_sub_f32_e32 v18, v54, v55
	v_fmac_f32_e32 v44, v10, v52
	s_delay_alu instid0(VALU_DEP_4) | instskip(SKIP_1) | instid1(VALU_DEP_4)
	v_dual_fmamk_f32 v10, v11, 0xbf5db3d7, v2 :: v_dual_add_f32 v9, v16, v17
	v_dual_add_f32 v17, v42, v24 :: v_dual_fmac_f32 v2, 0x3f5db3d7, v11
	v_dual_fmamk_f32 v11, v18, 0x3f5db3d7, v3 :: v_dual_add_f32 v16, v24, v25
	v_dual_fmac_f32 v3, 0xbf5db3d7, v18 :: v_dual_add_f32 v18, v26, v19
	v_dual_sub_f32 v40, v26, v19 :: v_dual_sub_f32 v41, v27, v44
	s_delay_alu instid0(VALU_DEP_3) | instskip(SKIP_1) | instid1(VALU_DEP_4)
	v_fma_f32 v42, -0.5, v16, v42
	v_dual_add_f32 v16, v17, v25 :: v_dual_add_f32 v17, v43, v26
	v_dual_fmac_f32 v43, -0.5, v18 :: v_dual_sub_f32 v24, v24, v25
	v_dual_add_f32 v25, v27, v44 :: v_dual_add_f32 v26, v0, v27
	s_delay_alu instid0(VALU_DEP_3) | instskip(NEXT) | instid1(VALU_DEP_3)
	v_dual_add_f32 v17, v17, v19 :: v_dual_fmamk_f32 v18, v40, 0xbf5db3d7, v42
	v_dual_fmac_f32 v42, 0x3f5db3d7, v40 :: v_dual_fmamk_f32 v19, v24, 0x3f5db3d7, v43
	v_dual_fmac_f32 v43, 0xbf5db3d7, v24 :: v_dual_add_f32 v24, v45, v46
	s_delay_alu instid0(VALU_DEP_4)
	v_fma_f32 v0, -0.5, v25, v0
	v_sub_f32_e32 v25, v45, v46
	v_add_f32_e32 v40, v1, v45
	s_barrier_signal -1
	v_fmac_f32_e32 v1, -0.5, v24
	v_add_f32_e32 v24, v26, v44
	v_fmamk_f32 v26, v25, 0xbf5db3d7, v0
	v_dual_fmac_f32 v0, 0x3f5db3d7, v25 :: v_dual_add_f32 v25, v40, v46
	s_delay_alu instid0(VALU_DEP_4)
	v_fmamk_f32 v27, v41, 0x3f5db3d7, v1
	v_fmac_f32_e32 v1, 0xbf5db3d7, v41
	s_barrier_wait -1
	global_inv scope:SCOPE_SE
	ds_store_2addr_b64 v99, v[8:9], v[10:11] offset1:17
	ds_store_b64 v99, v[2:3] offset:272
	ds_store_2addr_b64 v98, v[16:17], v[18:19] offset1:17
	ds_store_b64 v98, v[42:43] offset:272
	ds_store_2addr_b64 v97, v[24:25], v[26:27] offset1:17
	ds_store_b64 v97, v[0:1] offset:272
	s_and_saveexec_b32 s1, s0
	s_cbranch_execz .LBB0_21
; %bb.20:
	v_dual_mul_f32 v0, v5, v64 :: v_dual_mul_f32 v1, v7, v66
	v_dual_mul_f32 v2, v5, v65 :: v_dual_mul_f32 v7, v7, v67
	s_delay_alu instid0(VALU_DEP_2) | instskip(NEXT) | instid1(VALU_DEP_3)
	v_fma_f32 v0, v4, v65, -v0
	v_fma_f32 v3, v6, v67, -v1
	s_delay_alu instid0(VALU_DEP_3) | instskip(SKIP_1) | instid1(VALU_DEP_3)
	v_dual_fmac_f32 v2, v4, v64 :: v_dual_fmac_f32 v7, v6, v66
	v_mul_u32_u24_e32 v1, 51, v96
	v_dual_add_f32 v9, v78, v0 :: v_dual_add_f32 v4, v0, v3
	s_delay_alu instid0(VALU_DEP_3)
	v_add_f32_e32 v5, v2, v7
	v_sub_f32_e32 v8, v2, v7
	v_add_f32_e32 v2, v77, v2
	v_add_nc_u32_e32 v6, v1, v95
	v_fma_f32 v1, -0.5, v4, v78
	v_sub_f32_e32 v10, v0, v3
	v_fma_f32 v0, -0.5, v5, v77
	s_delay_alu instid0(VALU_DEP_3) | instskip(SKIP_1) | instid1(VALU_DEP_3)
	v_dual_add_f32 v2, v2, v7 :: v_dual_fmamk_f32 v5, v8, 0xbf5db3d7, v1
	v_fmac_f32_e32 v1, 0x3f5db3d7, v8
	v_dual_add_f32 v3, v9, v3 :: v_dual_fmamk_f32 v4, v10, 0x3f5db3d7, v0
	v_lshl_add_u32 v6, v6, 3, v91
	v_fmac_f32_e32 v0, 0xbf5db3d7, v10
	ds_store_2addr_b64 v6, v[2:3], v[0:1] offset1:17
	ds_store_b64 v6, v[4:5] offset:272
.LBB0_21:
	s_wait_alu 0xfffe
	s_or_b32 exec_lo, exec_lo, s1
	global_wb scope:SCOPE_SE
	s_wait_dscnt 0x0
	s_barrier_signal -1
	s_barrier_wait -1
	global_inv scope:SCOPE_SE
	ds_load_2addr_b64 v[0:3], v94 offset1:51
	ds_load_b64 v[40:41], v94 offset:816
	ds_load_2addr_b64 v[4:7], v94 offset0:153 offset1:204
	v_add_nc_u32_e32 v8, 0x400, v94
	v_add_nc_u32_e32 v24, 0x800, v94
	s_wait_dscnt 0x1
	v_dual_mul_f32 v42, v37, v3 :: v_dual_mul_f32 v43, v39, v41
	v_mul_f32_e32 v39, v39, v40
	ds_load_2addr_b64 v[8:11], v8 offset0:127 offset1:178
	ds_load_2addr_b64 v[16:19], v24 offset0:101 offset1:152
	;; [unrolled: 1-line block ×3, first 2 shown]
	s_wait_dscnt 0x3
	v_dual_mul_f32 v44, v33, v5 :: v_dual_mul_f32 v45, v35, v7
	v_mul_f32_e32 v37, v37, v2
	v_mul_f32_e32 v35, v35, v6
	v_dual_mul_f32 v33, v33, v4 :: v_dual_fmac_f32 v42, v36, v2
	v_fmac_f32_e32 v43, v38, v40
	v_fmac_f32_e32 v44, v32, v4
	v_fma_f32 v2, v36, v3, -v37
	s_delay_alu instid0(VALU_DEP_4)
	v_fma_f32 v4, v32, v5, -v33
	v_fma_f32 v36, v38, v41, -v39
	s_wait_dscnt 0x2
	v_mul_f32_e32 v5, v21, v9
	v_mul_f32_e32 v3, v21, v8
	v_add_f32_e32 v21, v1, v2
	v_fmac_f32_e32 v45, v34, v6
	v_fma_f32 v6, v34, v7, -v35
	v_mul_f32_e32 v7, v23, v11
	v_fmac_f32_e32 v5, v20, v8
	v_add_f32_e32 v8, v0, v42
	v_fma_f32 v9, v20, v9, -v3
	s_wait_dscnt 0x1
	v_dual_mul_f32 v3, v23, v10 :: v_dual_mul_f32 v20, v13, v17
	s_delay_alu instid0(VALU_DEP_3) | instskip(SKIP_1) | instid1(VALU_DEP_3)
	v_dual_fmac_f32 v7, v22, v10 :: v_dual_add_f32 v8, v8, v43
	v_add_f32_e32 v10, v21, v36
	v_fma_f32 v11, v22, v11, -v3
	s_delay_alu instid0(VALU_DEP_4) | instskip(NEXT) | instid1(VALU_DEP_4)
	v_fmac_f32_e32 v20, v12, v16
	v_add_f32_e32 v3, v8, v44
	s_delay_alu instid0(VALU_DEP_4) | instskip(SKIP_2) | instid1(VALU_DEP_2)
	v_add_f32_e32 v8, v10, v4
	s_wait_dscnt 0x0
	v_dual_mul_f32 v13, v13, v16 :: v_dual_mul_f32 v16, v31, v27
	v_add_f32_e32 v8, v8, v6
	s_delay_alu instid0(VALU_DEP_2) | instskip(SKIP_1) | instid1(VALU_DEP_3)
	v_fma_f32 v10, v12, v17, -v13
	v_dual_mul_f32 v17, v29, v24 :: v_dual_mul_f32 v12, v15, v19
	v_add_f32_e32 v8, v8, v9
	s_delay_alu instid0(VALU_DEP_2) | instskip(NEXT) | instid1(VALU_DEP_3)
	v_fma_f32 v17, v28, v25, -v17
	v_fmac_f32_e32 v12, v14, v18
	v_fmac_f32_e32 v16, v30, v26
	s_delay_alu instid0(VALU_DEP_4) | instskip(SKIP_1) | instid1(VALU_DEP_2)
	v_dual_mul_f32 v13, v15, v18 :: v_dual_add_f32 v8, v8, v11
	v_mul_f32_e32 v15, v29, v25
	v_fma_f32 v13, v14, v19, -v13
	s_delay_alu instid0(VALU_DEP_3) | instskip(SKIP_2) | instid1(VALU_DEP_3)
	v_add_f32_e32 v8, v8, v10
	v_mul_f32_e32 v14, v31, v26
	v_add_f32_e32 v3, v3, v45
	v_add_f32_e32 v8, v8, v13
	s_delay_alu instid0(VALU_DEP_3) | instskip(NEXT) | instid1(VALU_DEP_1)
	v_fma_f32 v14, v30, v27, -v14
	v_dual_add_f32 v3, v3, v5 :: v_dual_sub_f32 v18, v2, v14
	s_delay_alu instid0(VALU_DEP_1) | instskip(NEXT) | instid1(VALU_DEP_2)
	v_add_f32_e32 v3, v3, v7
	v_dual_fmac_f32 v15, v28, v24 :: v_dual_mul_f32 v22, 0xbf0a6770, v18
	s_delay_alu instid0(VALU_DEP_2) | instskip(NEXT) | instid1(VALU_DEP_1)
	v_dual_add_f32 v3, v3, v20 :: v_dual_sub_f32 v38, v36, v17
	v_add_f32_e32 v3, v3, v12
	v_add_f32_e32 v19, v42, v16
	s_delay_alu instid0(VALU_DEP_2) | instskip(NEXT) | instid1(VALU_DEP_2)
	v_dual_add_f32 v21, v2, v14 :: v_dual_add_f32 v2, v3, v15
	v_dual_fmamk_f32 v24, v19, 0x3f575c64, v22 :: v_dual_add_f32 v3, v8, v17
	s_delay_alu instid0(VALU_DEP_2) | instskip(NEXT) | instid1(VALU_DEP_3)
	v_dual_sub_f32 v8, v42, v16 :: v_dual_mul_f32 v23, 0x3f575c64, v21
	v_add_f32_e32 v2, v2, v16
	s_delay_alu instid0(VALU_DEP_3) | instskip(SKIP_1) | instid1(VALU_DEP_4)
	v_dual_add_f32 v24, v0, v24 :: v_dual_add_f32 v3, v3, v14
	v_mul_f32_e32 v14, 0xbf68dda4, v18
	v_fmamk_f32 v16, v8, 0x3f0a6770, v23
	v_fma_f32 v22, 0x3f575c64, v19, -v22
	v_mul_f32_e32 v29, 0xbe11bafb, v21
	v_fmac_f32_e32 v23, 0xbf0a6770, v8
	s_delay_alu instid0(VALU_DEP_4) | instskip(NEXT) | instid1(VALU_DEP_4)
	v_dual_fmamk_f32 v25, v19, 0x3ed4b147, v14 :: v_dual_add_f32 v16, v1, v16
	v_add_f32_e32 v22, v0, v22
	s_delay_alu instid0(VALU_DEP_3) | instskip(SKIP_1) | instid1(VALU_DEP_4)
	v_dual_mul_f32 v26, 0x3ed4b147, v21 :: v_dual_add_f32 v23, v1, v23
	v_fmamk_f32 v31, v8, 0x3f7d64f0, v29
	v_add_f32_e32 v25, v0, v25
	v_mul_f32_e32 v33, 0xbf27a4f4, v21
	s_delay_alu instid0(VALU_DEP_4) | instskip(NEXT) | instid1(VALU_DEP_4)
	v_fmamk_f32 v28, v8, 0x3f68dda4, v26
	v_dual_fmac_f32 v26, 0xbf68dda4, v8 :: v_dual_add_f32 v31, v1, v31
	v_mul_f32_e32 v27, 0xbf7d64f0, v18
	s_delay_alu instid0(VALU_DEP_3) | instskip(NEXT) | instid1(VALU_DEP_3)
	v_dual_fmamk_f32 v35, v8, 0x3f4178ce, v33 :: v_dual_add_f32 v28, v1, v28
	v_dual_add_f32 v26, v1, v26 :: v_dual_fmac_f32 v33, 0xbf4178ce, v8
	s_delay_alu instid0(VALU_DEP_3) | instskip(SKIP_2) | instid1(VALU_DEP_4)
	v_fmamk_f32 v30, v19, 0xbe11bafb, v27
	v_fma_f32 v27, 0xbe11bafb, v19, -v27
	v_mul_f32_e32 v32, 0xbf4178ce, v18
	v_dual_mul_f32 v18, 0xbe903f40, v18 :: v_dual_add_f32 v33, v1, v33
	v_add_f32_e32 v35, v1, v35
	s_delay_alu instid0(VALU_DEP_3) | instskip(SKIP_1) | instid1(VALU_DEP_4)
	v_dual_add_f32 v27, v0, v27 :: v_dual_fmamk_f32 v34, v19, 0xbf27a4f4, v32
	v_fma_f32 v32, 0xbf27a4f4, v19, -v32
	v_fmamk_f32 v37, v19, 0xbf75a155, v18
	v_fma_f32 v14, 0x3ed4b147, v19, -v14
	v_fma_f32 v18, 0xbf75a155, v19, -v18
	v_dual_add_f32 v34, v0, v34 :: v_dual_mul_f32 v21, 0xbf75a155, v21
	v_dual_add_f32 v32, v0, v32 :: v_dual_add_f32 v19, v43, v15
	v_add_f32_e32 v37, v0, v37
	v_dual_add_f32 v17, v36, v17 :: v_dual_mul_f32 v36, 0xbf68dda4, v38
	v_dual_add_f32 v14, v0, v14 :: v_dual_fmac_f32 v29, 0xbf7d64f0, v8
	v_add_f32_e32 v30, v0, v30
	v_add_f32_e32 v0, v0, v18
	v_fmamk_f32 v39, v8, 0x3e903f40, v21
	v_fmamk_f32 v40, v19, 0x3ed4b147, v36
	v_fma_f32 v36, 0x3ed4b147, v19, -v36
	v_dual_fmac_f32 v21, 0xbe903f40, v8 :: v_dual_sub_f32 v8, v43, v15
	s_delay_alu instid0(VALU_DEP_3) | instskip(SKIP_2) | instid1(VALU_DEP_3)
	v_dual_mul_f32 v15, 0x3ed4b147, v17 :: v_dual_add_f32 v24, v40, v24
	v_add_f32_e32 v29, v1, v29
	v_dual_add_f32 v39, v1, v39 :: v_dual_mul_f32 v40, 0xbf27a4f4, v17
	v_fmamk_f32 v18, v8, 0x3f68dda4, v15
	v_dual_add_f32 v22, v36, v22 :: v_dual_add_f32 v1, v1, v21
	v_mul_f32_e32 v21, 0xbf4178ce, v38
	s_delay_alu instid0(VALU_DEP_3) | instskip(NEXT) | instid1(VALU_DEP_2)
	v_dual_mul_f32 v41, 0xbf75a155, v17 :: v_dual_add_f32 v16, v18, v16
	v_fmamk_f32 v18, v19, 0xbf27a4f4, v21
	s_delay_alu instid0(VALU_DEP_1) | instskip(SKIP_3) | instid1(VALU_DEP_4)
	v_dual_add_f32 v18, v18, v25 :: v_dual_fmamk_f32 v25, v8, 0x3f4178ce, v40
	v_fmac_f32_e32 v40, 0xbf4178ce, v8
	v_fma_f32 v21, 0xbf27a4f4, v19, -v21
	v_fmac_f32_e32 v15, 0xbf68dda4, v8
	v_dual_add_f32 v25, v25, v28 :: v_dual_fmamk_f32 v28, v8, 0xbe903f40, v41
	s_delay_alu instid0(VALU_DEP_2) | instskip(SKIP_2) | instid1(VALU_DEP_4)
	v_dual_add_f32 v14, v21, v14 :: v_dual_add_f32 v15, v15, v23
	v_mul_f32_e32 v23, 0x3e903f40, v38
	v_add_f32_e32 v21, v40, v26
	v_add_f32_e32 v28, v28, v31
	s_delay_alu instid0(VALU_DEP_3) | instskip(SKIP_1) | instid1(VALU_DEP_2)
	v_fmamk_f32 v36, v19, 0xbf75a155, v23
	v_fma_f32 v23, 0xbf75a155, v19, -v23
	v_add_f32_e32 v26, v36, v30
	s_delay_alu instid0(VALU_DEP_2) | instskip(SKIP_3) | instid1(VALU_DEP_4)
	v_dual_mul_f32 v30, 0x3f7d64f0, v38 :: v_dual_add_f32 v23, v23, v27
	v_mul_f32_e32 v36, 0xbe11bafb, v17
	v_fmac_f32_e32 v41, 0x3e903f40, v8
	v_mul_f32_e32 v38, 0x3f0a6770, v38
	v_fmamk_f32 v31, v19, 0xbe11bafb, v30
	v_fma_f32 v30, 0xbe11bafb, v19, -v30
	v_mul_f32_e32 v17, 0x3f575c64, v17
	s_delay_alu instid0(VALU_DEP_2)
	v_dual_add_f32 v31, v31, v34 :: v_dual_add_f32 v30, v30, v32
	v_sub_f32_e32 v32, v4, v13
	v_dual_add_f32 v29, v41, v29 :: v_dual_fmamk_f32 v34, v19, 0x3f575c64, v38
	v_fmamk_f32 v27, v8, 0xbf7d64f0, v36
	v_fmac_f32_e32 v36, 0x3f7d64f0, v8
	v_add_f32_e32 v4, v4, v13
	v_fma_f32 v13, 0x3f575c64, v19, -v38
	s_delay_alu instid0(VALU_DEP_4) | instskip(NEXT) | instid1(VALU_DEP_4)
	v_dual_add_f32 v34, v34, v37 :: v_dual_add_f32 v27, v27, v35
	v_add_f32_e32 v33, v36, v33
	v_add_f32_e32 v36, v44, v12
	s_delay_alu instid0(VALU_DEP_4) | instskip(SKIP_4) | instid1(VALU_DEP_4)
	v_add_f32_e32 v0, v13, v0
	v_mul_f32_e32 v37, 0xbf7d64f0, v32
	v_fmamk_f32 v35, v8, 0xbf0a6770, v17
	v_fmac_f32_e32 v17, 0x3f0a6770, v8
	v_sub_f32_e32 v8, v44, v12
	v_dual_mul_f32 v19, 0xbe11bafb, v4 :: v_dual_fmamk_f32 v12, v36, 0xbe11bafb, v37
	v_mul_f32_e32 v38, 0x3f575c64, v4
	s_delay_alu instid0(VALU_DEP_2) | instskip(SKIP_1) | instid1(VALU_DEP_4)
	v_fmamk_f32 v13, v8, 0x3f7d64f0, v19
	v_fmac_f32_e32 v19, 0xbf7d64f0, v8
	v_add_f32_e32 v12, v12, v24
	v_fma_f32 v24, 0xbe11bafb, v36, -v37
	v_mul_f32_e32 v37, 0xbf75a155, v4
	v_add_f32_e32 v13, v13, v16
	s_delay_alu instid0(VALU_DEP_3) | instskip(SKIP_3) | instid1(VALU_DEP_2)
	v_dual_add_f32 v15, v19, v15 :: v_dual_add_f32 v22, v24, v22
	v_add_f32_e32 v1, v17, v1
	v_mul_f32_e32 v17, 0x3e903f40, v32
	v_fmamk_f32 v19, v8, 0xbe903f40, v37
	v_fmamk_f32 v16, v36, 0xbf75a155, v17
	s_delay_alu instid0(VALU_DEP_1) | instskip(SKIP_1) | instid1(VALU_DEP_4)
	v_add_f32_e32 v16, v16, v18
	v_fma_f32 v17, 0xbf75a155, v36, -v17
	v_add_f32_e32 v18, v19, v25
	v_add_f32_e32 v35, v35, v39
	v_fmac_f32_e32 v37, 0x3e903f40, v8
	v_mul_f32_e32 v24, 0x3f68dda4, v32
	v_dual_mul_f32 v25, 0x3ed4b147, v4 :: v_dual_add_f32 v14, v17, v14
	s_delay_alu instid0(VALU_DEP_3) | instskip(NEXT) | instid1(VALU_DEP_3)
	v_dual_mul_f32 v4, 0xbf27a4f4, v4 :: v_dual_add_f32 v17, v37, v21
	v_fmamk_f32 v19, v36, 0x3ed4b147, v24
	v_mul_f32_e32 v21, 0xbf0a6770, v32
	v_fma_f32 v24, 0x3ed4b147, v36, -v24
	s_delay_alu instid0(VALU_DEP_3) | instskip(SKIP_1) | instid1(VALU_DEP_4)
	v_dual_add_f32 v19, v19, v26 :: v_dual_fmamk_f32 v26, v8, 0xbf68dda4, v25
	v_fmac_f32_e32 v25, 0x3f68dda4, v8
	v_fmamk_f32 v37, v36, 0x3f575c64, v21
	s_delay_alu instid0(VALU_DEP_4)
	v_add_f32_e32 v23, v24, v23
	v_fma_f32 v21, 0x3f575c64, v36, -v21
	v_add_f32_e32 v26, v26, v28
	v_add_f32_e32 v24, v25, v29
	v_dual_add_f32 v25, v37, v31 :: v_dual_fmamk_f32 v28, v8, 0x3f0a6770, v38
	v_mul_f32_e32 v29, 0xbf4178ce, v32
	v_fmac_f32_e32 v38, 0xbf0a6770, v8
	v_dual_sub_f32 v32, v6, v10 :: v_dual_fmamk_f32 v31, v8, 0x3f4178ce, v4
	s_delay_alu instid0(VALU_DEP_4) | instskip(NEXT) | instid1(VALU_DEP_4)
	v_add_f32_e32 v27, v28, v27
	v_dual_fmamk_f32 v28, v36, 0xbf27a4f4, v29 :: v_dual_add_f32 v21, v21, v30
	s_delay_alu instid0(VALU_DEP_4)
	v_add_f32_e32 v30, v38, v33
	v_add_f32_e32 v6, v6, v10
	v_fmac_f32_e32 v4, 0xbf4178ce, v8
	v_mul_f32_e32 v10, 0xbf4178ce, v32
	v_sub_f32_e32 v8, v45, v20
	v_dual_add_f32 v33, v45, v20 :: v_dual_add_f32 v28, v28, v34
	s_delay_alu instid0(VALU_DEP_4) | instskip(SKIP_1) | instid1(VALU_DEP_3)
	v_dual_add_f32 v1, v4, v1 :: v_dual_mul_f32 v4, 0x3f7d64f0, v32
	v_mul_f32_e32 v20, 0xbf27a4f4, v6
	v_fmamk_f32 v34, v33, 0xbf27a4f4, v10
	v_fma_f32 v10, 0xbf27a4f4, v33, -v10
	s_delay_alu instid0(VALU_DEP_2) | instskip(SKIP_2) | instid1(VALU_DEP_4)
	v_add_f32_e32 v12, v34, v12
	v_fmamk_f32 v34, v33, 0xbe11bafb, v4
	v_fma_f32 v4, 0xbe11bafb, v33, -v4
	v_add_f32_e32 v10, v10, v22
	s_delay_alu instid0(VALU_DEP_3) | instskip(NEXT) | instid1(VALU_DEP_3)
	v_add_f32_e32 v16, v34, v16
	v_add_f32_e32 v14, v4, v14
	v_fma_f32 v29, 0xbf27a4f4, v36, -v29
	s_delay_alu instid0(VALU_DEP_1) | instskip(SKIP_1) | instid1(VALU_DEP_1)
	v_dual_add_f32 v0, v29, v0 :: v_dual_add_f32 v31, v31, v35
	v_fmamk_f32 v29, v8, 0x3f4178ce, v20
	v_dual_fmac_f32 v20, 0xbf4178ce, v8 :: v_dual_add_f32 v13, v29, v13
	v_mul_f32_e32 v29, 0xbe11bafb, v6
	s_delay_alu instid0(VALU_DEP_2) | instskip(NEXT) | instid1(VALU_DEP_2)
	v_add_f32_e32 v15, v20, v15
	v_fmamk_f32 v22, v8, 0xbf7d64f0, v29
	v_mul_f32_e32 v34, 0x3f575c64, v6
	s_delay_alu instid0(VALU_DEP_2) | instskip(NEXT) | instid1(VALU_DEP_2)
	v_add_f32_e32 v18, v22, v18
	v_fmamk_f32 v4, v8, 0x3f0a6770, v34
	v_fmac_f32_e32 v29, 0x3f7d64f0, v8
	v_mul_f32_e32 v22, 0xbe903f40, v32
	s_delay_alu instid0(VALU_DEP_2) | instskip(NEXT) | instid1(VALU_DEP_2)
	v_dual_add_f32 v26, v4, v26 :: v_dual_add_f32 v17, v29, v17
	v_dual_mul_f32 v4, 0xbf75a155, v6 :: v_dual_fmamk_f32 v29, v33, 0xbf75a155, v22
	v_mul_f32_e32 v20, 0xbf0a6770, v32
	s_delay_alu instid0(VALU_DEP_2) | instskip(NEXT) | instid1(VALU_DEP_2)
	v_dual_mul_f32 v6, 0x3ed4b147, v6 :: v_dual_add_f32 v25, v29, v25
	v_fmamk_f32 v35, v33, 0x3f575c64, v20
	v_fma_f32 v20, 0x3f575c64, v33, -v20
	s_delay_alu instid0(VALU_DEP_2) | instskip(NEXT) | instid1(VALU_DEP_1)
	v_dual_fmac_f32 v34, 0xbf0a6770, v8 :: v_dual_add_f32 v19, v35, v19
	v_dual_add_f32 v20, v20, v23 :: v_dual_add_f32 v23, v34, v24
	v_mul_f32_e32 v24, 0x3f68dda4, v32
	v_fmamk_f32 v32, v8, 0x3e903f40, v4
	s_delay_alu instid0(VALU_DEP_2) | instskip(SKIP_1) | instid1(VALU_DEP_2)
	v_fmamk_f32 v29, v33, 0x3ed4b147, v24
	v_fma_f32 v24, 0x3ed4b147, v33, -v24
	v_add_f32_e32 v28, v29, v28
	v_sub_f32_e32 v29, v9, v11
	v_fma_f32 v22, 0xbf75a155, v33, -v22
	v_dual_fmac_f32 v4, 0xbe903f40, v8 :: v_dual_sub_f32 v33, v5, v7
	v_add_f32_e32 v0, v24, v0
	s_delay_alu instid0(VALU_DEP_4) | instskip(NEXT) | instid1(VALU_DEP_3)
	v_mul_f32_e32 v24, 0xbf7d64f0, v29
	v_dual_add_f32 v21, v22, v21 :: v_dual_add_f32 v22, v4, v30
	v_fmamk_f32 v4, v8, 0xbf68dda4, v6
	v_dual_add_f32 v30, v9, v11 :: v_dual_mul_f32 v11, 0x3f0a6770, v29
	v_mul_f32_e32 v9, 0xbe903f40, v29
	s_delay_alu instid0(VALU_DEP_3) | instskip(NEXT) | instid1(VALU_DEP_1)
	v_dual_add_f32 v31, v4, v31 :: v_dual_fmac_f32 v6, 0x3f68dda4, v8
	v_add_f32_e32 v1, v6, v1
	v_add_f32_e32 v27, v32, v27
	v_dual_add_f32 v32, v5, v7 :: v_dual_mul_f32 v7, 0xbf75a155, v30
	s_delay_alu instid0(VALU_DEP_1) | instskip(SKIP_1) | instid1(VALU_DEP_3)
	v_fmamk_f32 v5, v33, 0x3e903f40, v7
	v_fmac_f32_e32 v7, 0xbe903f40, v33
	v_fma_f32 v6, 0xbf75a155, v32, -v9
	v_fmamk_f32 v8, v32, 0x3f575c64, v11
	s_delay_alu instid0(VALU_DEP_4) | instskip(NEXT) | instid1(VALU_DEP_3)
	v_dual_fmamk_f32 v4, v32, 0xbf75a155, v9 :: v_dual_add_f32 v5, v5, v13
	v_dual_mul_f32 v13, 0xbf4178ce, v29 :: v_dual_add_f32 v6, v6, v10
	s_delay_alu instid0(VALU_DEP_3) | instskip(SKIP_3) | instid1(VALU_DEP_3)
	v_add_f32_e32 v8, v8, v16
	v_fma_f32 v10, 0x3f575c64, v32, -v11
	v_mul_f32_e32 v16, 0xbf27a4f4, v30
	v_dual_add_f32 v4, v4, v12 :: v_dual_add_f32 v7, v7, v15
	v_dual_fmamk_f32 v15, v32, 0xbf27a4f4, v13 :: v_dual_add_f32 v10, v10, v14
	s_delay_alu instid0(VALU_DEP_3) | instskip(SKIP_2) | instid1(VALU_DEP_1)
	v_fmamk_f32 v14, v33, 0x3f4178ce, v16
	v_fmac_f32_e32 v16, 0xbf4178ce, v33
	v_mul_f32_e32 v12, 0x3f575c64, v30
	v_fmamk_f32 v9, v33, 0xbf0a6770, v12
	s_delay_alu instid0(VALU_DEP_1) | instskip(NEXT) | instid1(VALU_DEP_1)
	v_dual_fmac_f32 v12, 0x3f0a6770, v33 :: v_dual_add_f32 v9, v9, v18
	v_add_f32_e32 v11, v12, v17
	v_dual_mul_f32 v17, 0x3f68dda4, v29 :: v_dual_add_f32 v12, v15, v19
	v_mul_f32_e32 v19, 0x3ed4b147, v30
	v_fma_f32 v15, 0xbf27a4f4, v32, -v13
	s_delay_alu instid0(VALU_DEP_3) | instskip(NEXT) | instid1(VALU_DEP_2)
	v_dual_add_f32 v13, v14, v26 :: v_dual_fmamk_f32 v18, v32, 0x3ed4b147, v17
	v_dual_add_f32 v14, v15, v20 :: v_dual_add_f32 v15, v16, v23
	s_delay_alu instid0(VALU_DEP_4) | instskip(SKIP_1) | instid1(VALU_DEP_4)
	v_fmamk_f32 v20, v33, 0xbf68dda4, v19
	v_fma_f32 v23, 0x3ed4b147, v32, -v17
	v_dual_add_f32 v16, v18, v25 :: v_dual_mul_f32 v25, 0xbe11bafb, v30
	v_fmac_f32_e32 v19, 0x3f68dda4, v33
	s_delay_alu instid0(VALU_DEP_3) | instskip(SKIP_1) | instid1(VALU_DEP_4)
	v_dual_add_f32 v17, v20, v27 :: v_dual_add_f32 v18, v23, v21
	v_fmamk_f32 v20, v32, 0xbe11bafb, v24
	v_fmamk_f32 v21, v33, 0x3f7d64f0, v25
	v_fma_f32 v23, 0xbe11bafb, v32, -v24
	v_fmac_f32_e32 v25, 0xbf7d64f0, v33
	s_delay_alu instid0(VALU_DEP_4) | instskip(NEXT) | instid1(VALU_DEP_3)
	v_dual_add_f32 v19, v19, v22 :: v_dual_add_f32 v20, v20, v28
	v_dual_add_f32 v21, v21, v31 :: v_dual_add_f32 v22, v23, v0
	s_delay_alu instid0(VALU_DEP_3)
	v_add_f32_e32 v23, v25, v1
	v_add_nc_u32_e32 v1, 0x400, v93
	v_add_nc_u32_e32 v0, 0x800, v93
	ds_store_b64 v93, v[2:3]
	ds_store_2addr_b64 v93, v[4:5], v[8:9] offset0:51 offset1:102
	ds_store_2addr_b64 v93, v[12:13], v[16:17] offset0:153 offset1:204
	;; [unrolled: 1-line block ×5, first 2 shown]
	global_wb scope:SCOPE_SE
	s_wait_dscnt 0x0
	s_barrier_signal -1
	s_barrier_wait -1
	global_inv scope:SCOPE_SE
	s_and_b32 exec_lo, exec_lo, vcc_lo
	s_cbranch_execz .LBB0_23
; %bb.22:
	global_load_b64 v[2:3], v89, s[8:9]
	ds_load_b64 v[4:5], v93
	v_mad_co_u64_u32 v[8:9], null, s4, v90, 0
	s_mov_b32 s0, 0x4bc01d34
	s_mov_b32 s1, 0x3f5d347a
	s_mul_u64 s[2:3], s[4:5], 0x108
	s_wait_loadcnt_dscnt 0x0
	v_mul_f32_e32 v6, v5, v3
	v_mul_f32_e32 v3, v4, v3
	s_delay_alu instid0(VALU_DEP_2) | instskip(NEXT) | instid1(VALU_DEP_2)
	v_fmac_f32_e32 v6, v4, v2
	v_fma_f32 v4, v2, v5, -v3
	s_delay_alu instid0(VALU_DEP_2) | instskip(NEXT) | instid1(VALU_DEP_2)
	v_cvt_f64_f32_e32 v[2:3], v6
	v_cvt_f64_f32_e32 v[4:5], v4
	v_mad_co_u64_u32 v[6:7], null, s6, v68, 0
	s_wait_alu 0xfffe
	s_delay_alu instid0(VALU_DEP_3) | instskip(NEXT) | instid1(VALU_DEP_3)
	v_mul_f64_e32 v[2:3], s[0:1], v[2:3]
	v_mul_f64_e32 v[4:5], s[0:1], v[4:5]
	s_delay_alu instid0(VALU_DEP_2) | instskip(NEXT) | instid1(VALU_DEP_2)
	v_cvt_f32_f64_e32 v2, v[2:3]
	v_cvt_f32_f64_e32 v3, v[4:5]
	v_dual_mov_b32 v5, v9 :: v_dual_mov_b32 v4, v7
	s_delay_alu instid0(VALU_DEP_1) | instskip(SKIP_1) | instid1(VALU_DEP_2)
	v_mad_co_u64_u32 v[9:10], null, s7, v68, v[4:5]
	v_mad_co_u64_u32 v[4:5], null, s5, v90, v[5:6]
	v_mov_b32_e32 v7, v9
	s_delay_alu instid0(VALU_DEP_2) | instskip(NEXT) | instid1(VALU_DEP_2)
	v_mov_b32_e32 v9, v4
	v_lshlrev_b64_e32 v[4:5], 3, v[6:7]
	s_delay_alu instid0(VALU_DEP_2) | instskip(NEXT) | instid1(VALU_DEP_2)
	v_lshlrev_b64_e32 v[6:7], 3, v[8:9]
	v_add_co_u32 v4, vcc_lo, s12, v4
	s_delay_alu instid0(VALU_DEP_3) | instskip(NEXT) | instid1(VALU_DEP_2)
	v_add_co_ci_u32_e32 v5, vcc_lo, s13, v5, vcc_lo
	v_add_co_u32 v6, vcc_lo, v4, v6
	s_wait_alu 0xfffd
	s_delay_alu instid0(VALU_DEP_2)
	v_add_co_ci_u32_e32 v7, vcc_lo, v5, v7, vcc_lo
	global_store_b64 v[6:7], v[2:3], off
	global_load_b64 v[8:9], v89, s[8:9] offset:264
	ds_load_2addr_b64 v[2:5], v93 offset0:33 offset1:66
	v_add_co_u32 v6, vcc_lo, v6, s2
	s_wait_alu 0xfffd
	v_add_co_ci_u32_e32 v7, vcc_lo, s3, v7, vcc_lo
	s_wait_loadcnt_dscnt 0x0
	v_mul_f32_e32 v10, v3, v9
	v_mul_f32_e32 v9, v2, v9
	s_delay_alu instid0(VALU_DEP_2) | instskip(NEXT) | instid1(VALU_DEP_2)
	v_fmac_f32_e32 v10, v2, v8
	v_fma_f32 v8, v8, v3, -v9
	s_delay_alu instid0(VALU_DEP_2) | instskip(NEXT) | instid1(VALU_DEP_2)
	v_cvt_f64_f32_e32 v[2:3], v10
	v_cvt_f64_f32_e32 v[8:9], v8
	s_delay_alu instid0(VALU_DEP_2) | instskip(NEXT) | instid1(VALU_DEP_2)
	v_mul_f64_e32 v[2:3], s[0:1], v[2:3]
	v_mul_f64_e32 v[8:9], s[0:1], v[8:9]
	s_delay_alu instid0(VALU_DEP_2) | instskip(NEXT) | instid1(VALU_DEP_2)
	v_cvt_f32_f64_e32 v2, v[2:3]
	v_cvt_f32_f64_e32 v3, v[8:9]
	global_store_b64 v[6:7], v[2:3], off
	global_load_b64 v[2:3], v89, s[8:9] offset:528
	v_add_co_u32 v6, vcc_lo, v6, s2
	s_wait_alu 0xfffd
	v_add_co_ci_u32_e32 v7, vcc_lo, s3, v7, vcc_lo
	s_wait_loadcnt 0x0
	v_mul_f32_e32 v8, v5, v3
	v_mul_f32_e32 v3, v4, v3
	s_delay_alu instid0(VALU_DEP_2) | instskip(NEXT) | instid1(VALU_DEP_2)
	v_fmac_f32_e32 v8, v4, v2
	v_fma_f32 v4, v2, v5, -v3
	s_delay_alu instid0(VALU_DEP_2) | instskip(NEXT) | instid1(VALU_DEP_2)
	v_cvt_f64_f32_e32 v[2:3], v8
	v_cvt_f64_f32_e32 v[4:5], v4
	s_delay_alu instid0(VALU_DEP_2) | instskip(NEXT) | instid1(VALU_DEP_2)
	v_mul_f64_e32 v[2:3], s[0:1], v[2:3]
	v_mul_f64_e32 v[4:5], s[0:1], v[4:5]
	s_delay_alu instid0(VALU_DEP_2) | instskip(NEXT) | instid1(VALU_DEP_2)
	v_cvt_f32_f64_e32 v2, v[2:3]
	v_cvt_f32_f64_e32 v3, v[4:5]
	global_store_b64 v[6:7], v[2:3], off
	global_load_b64 v[8:9], v89, s[8:9] offset:792
	ds_load_2addr_b64 v[2:5], v93 offset0:99 offset1:132
	v_add_co_u32 v6, vcc_lo, v6, s2
	s_wait_alu 0xfffd
	v_add_co_ci_u32_e32 v7, vcc_lo, s3, v7, vcc_lo
	s_wait_loadcnt_dscnt 0x0
	v_mul_f32_e32 v10, v3, v9
	v_mul_f32_e32 v9, v2, v9
	s_delay_alu instid0(VALU_DEP_2) | instskip(NEXT) | instid1(VALU_DEP_2)
	v_fmac_f32_e32 v10, v2, v8
	v_fma_f32 v8, v8, v3, -v9
	s_delay_alu instid0(VALU_DEP_2) | instskip(NEXT) | instid1(VALU_DEP_2)
	v_cvt_f64_f32_e32 v[2:3], v10
	v_cvt_f64_f32_e32 v[8:9], v8
	s_delay_alu instid0(VALU_DEP_2) | instskip(NEXT) | instid1(VALU_DEP_2)
	v_mul_f64_e32 v[2:3], s[0:1], v[2:3]
	v_mul_f64_e32 v[8:9], s[0:1], v[8:9]
	s_delay_alu instid0(VALU_DEP_2) | instskip(NEXT) | instid1(VALU_DEP_2)
	v_cvt_f32_f64_e32 v2, v[2:3]
	v_cvt_f32_f64_e32 v3, v[8:9]
	global_store_b64 v[6:7], v[2:3], off
	global_load_b64 v[2:3], v89, s[8:9] offset:1056
	v_add_co_u32 v6, vcc_lo, v6, s2
	s_wait_alu 0xfffd
	v_add_co_ci_u32_e32 v7, vcc_lo, s3, v7, vcc_lo
	s_wait_loadcnt 0x0
	v_mul_f32_e32 v8, v5, v3
	v_mul_f32_e32 v3, v4, v3
	s_delay_alu instid0(VALU_DEP_2) | instskip(NEXT) | instid1(VALU_DEP_2)
	v_fmac_f32_e32 v8, v4, v2
	v_fma_f32 v4, v2, v5, -v3
	s_delay_alu instid0(VALU_DEP_2) | instskip(NEXT) | instid1(VALU_DEP_2)
	v_cvt_f64_f32_e32 v[2:3], v8
	v_cvt_f64_f32_e32 v[4:5], v4
	s_delay_alu instid0(VALU_DEP_2) | instskip(NEXT) | instid1(VALU_DEP_2)
	v_mul_f64_e32 v[2:3], s[0:1], v[2:3]
	v_mul_f64_e32 v[4:5], s[0:1], v[4:5]
	s_delay_alu instid0(VALU_DEP_2) | instskip(NEXT) | instid1(VALU_DEP_2)
	v_cvt_f32_f64_e32 v2, v[2:3]
	v_cvt_f32_f64_e32 v3, v[4:5]
	global_store_b64 v[6:7], v[2:3], off
	global_load_b64 v[8:9], v89, s[8:9] offset:1320
	ds_load_2addr_b64 v[2:5], v93 offset0:165 offset1:198
	v_add_co_u32 v6, vcc_lo, v6, s2
	s_wait_alu 0xfffd
	v_add_co_ci_u32_e32 v7, vcc_lo, s3, v7, vcc_lo
	s_wait_loadcnt_dscnt 0x0
	v_mul_f32_e32 v10, v3, v9
	v_mul_f32_e32 v9, v2, v9
	s_delay_alu instid0(VALU_DEP_2) | instskip(NEXT) | instid1(VALU_DEP_2)
	v_fmac_f32_e32 v10, v2, v8
	v_fma_f32 v8, v8, v3, -v9
	s_delay_alu instid0(VALU_DEP_2) | instskip(NEXT) | instid1(VALU_DEP_2)
	v_cvt_f64_f32_e32 v[2:3], v10
	v_cvt_f64_f32_e32 v[8:9], v8
	s_delay_alu instid0(VALU_DEP_2) | instskip(NEXT) | instid1(VALU_DEP_2)
	v_mul_f64_e32 v[2:3], s[0:1], v[2:3]
	v_mul_f64_e32 v[8:9], s[0:1], v[8:9]
	s_delay_alu instid0(VALU_DEP_2) | instskip(NEXT) | instid1(VALU_DEP_2)
	v_cvt_f32_f64_e32 v2, v[2:3]
	v_cvt_f32_f64_e32 v3, v[8:9]
	global_store_b64 v[6:7], v[2:3], off
	global_load_b64 v[2:3], v89, s[8:9] offset:1584
	s_wait_loadcnt 0x0
	v_mul_f32_e32 v8, v5, v3
	v_mul_f32_e32 v3, v4, v3
	s_delay_alu instid0(VALU_DEP_2) | instskip(NEXT) | instid1(VALU_DEP_2)
	v_fmac_f32_e32 v8, v4, v2
	v_fma_f32 v4, v2, v5, -v3
	s_delay_alu instid0(VALU_DEP_2) | instskip(NEXT) | instid1(VALU_DEP_2)
	v_cvt_f64_f32_e32 v[2:3], v8
	v_cvt_f64_f32_e32 v[4:5], v4
	s_delay_alu instid0(VALU_DEP_2) | instskip(NEXT) | instid1(VALU_DEP_2)
	v_mul_f64_e32 v[2:3], s[0:1], v[2:3]
	v_mul_f64_e32 v[4:5], s[0:1], v[4:5]
	s_delay_alu instid0(VALU_DEP_2) | instskip(NEXT) | instid1(VALU_DEP_2)
	v_cvt_f32_f64_e32 v2, v[2:3]
	v_cvt_f32_f64_e32 v3, v[4:5]
	v_add_co_u32 v5, vcc_lo, v6, s2
	s_wait_alu 0xfffd
	v_add_co_ci_u32_e32 v6, vcc_lo, s3, v7, vcc_lo
	global_store_b64 v[5:6], v[2:3], off
	global_load_b64 v[7:8], v89, s[8:9] offset:1848
	ds_load_2addr_b64 v[1:4], v1 offset0:103 offset1:136
	v_add_co_u32 v5, vcc_lo, v5, s2
	s_wait_alu 0xfffd
	v_add_co_ci_u32_e32 v6, vcc_lo, s3, v6, vcc_lo
	s_wait_loadcnt_dscnt 0x0
	v_mul_f32_e32 v9, v2, v8
	v_mul_f32_e32 v8, v1, v8
	s_delay_alu instid0(VALU_DEP_2) | instskip(NEXT) | instid1(VALU_DEP_2)
	v_fmac_f32_e32 v9, v1, v7
	v_fma_f32 v7, v7, v2, -v8
	s_delay_alu instid0(VALU_DEP_2) | instskip(NEXT) | instid1(VALU_DEP_2)
	v_cvt_f64_f32_e32 v[1:2], v9
	v_cvt_f64_f32_e32 v[7:8], v7
	s_delay_alu instid0(VALU_DEP_2) | instskip(NEXT) | instid1(VALU_DEP_2)
	v_mul_f64_e32 v[1:2], s[0:1], v[1:2]
	v_mul_f64_e32 v[7:8], s[0:1], v[7:8]
	s_delay_alu instid0(VALU_DEP_2) | instskip(NEXT) | instid1(VALU_DEP_2)
	v_cvt_f32_f64_e32 v1, v[1:2]
	v_cvt_f32_f64_e32 v2, v[7:8]
	global_store_b64 v[5:6], v[1:2], off
	global_load_b64 v[1:2], v89, s[8:9] offset:2112
	v_add_co_u32 v5, vcc_lo, v5, s2
	s_wait_alu 0xfffd
	v_add_co_ci_u32_e32 v6, vcc_lo, s3, v6, vcc_lo
	s_wait_loadcnt 0x0
	v_mul_f32_e32 v7, v4, v2
	v_mul_f32_e32 v2, v3, v2
	s_delay_alu instid0(VALU_DEP_2) | instskip(NEXT) | instid1(VALU_DEP_2)
	v_fmac_f32_e32 v7, v3, v1
	v_fma_f32 v3, v1, v4, -v2
	s_delay_alu instid0(VALU_DEP_2) | instskip(NEXT) | instid1(VALU_DEP_2)
	v_cvt_f64_f32_e32 v[1:2], v7
	v_cvt_f64_f32_e32 v[3:4], v3
	s_delay_alu instid0(VALU_DEP_2) | instskip(NEXT) | instid1(VALU_DEP_2)
	v_mul_f64_e32 v[1:2], s[0:1], v[1:2]
	v_mul_f64_e32 v[3:4], s[0:1], v[3:4]
	s_delay_alu instid0(VALU_DEP_2) | instskip(NEXT) | instid1(VALU_DEP_2)
	v_cvt_f32_f64_e32 v1, v[1:2]
	v_cvt_f32_f64_e32 v2, v[3:4]
	global_store_b64 v[5:6], v[1:2], off
	global_load_b64 v[7:8], v89, s[8:9] offset:2376
	ds_load_2addr_b64 v[1:4], v0 offset0:41 offset1:74
	v_add_co_u32 v5, vcc_lo, v5, s2
	s_wait_alu 0xfffd
	v_add_co_ci_u32_e32 v6, vcc_lo, s3, v6, vcc_lo
	s_wait_loadcnt_dscnt 0x0
	v_mul_f32_e32 v9, v2, v8
	v_mul_f32_e32 v8, v1, v8
	s_delay_alu instid0(VALU_DEP_2) | instskip(NEXT) | instid1(VALU_DEP_2)
	v_fmac_f32_e32 v9, v1, v7
	v_fma_f32 v7, v7, v2, -v8
	s_delay_alu instid0(VALU_DEP_2) | instskip(NEXT) | instid1(VALU_DEP_2)
	v_cvt_f64_f32_e32 v[1:2], v9
	v_cvt_f64_f32_e32 v[7:8], v7
	s_delay_alu instid0(VALU_DEP_2) | instskip(NEXT) | instid1(VALU_DEP_2)
	v_mul_f64_e32 v[1:2], s[0:1], v[1:2]
	v_mul_f64_e32 v[7:8], s[0:1], v[7:8]
	s_delay_alu instid0(VALU_DEP_2) | instskip(NEXT) | instid1(VALU_DEP_2)
	v_cvt_f32_f64_e32 v1, v[1:2]
	v_cvt_f32_f64_e32 v2, v[7:8]
	global_store_b64 v[5:6], v[1:2], off
	global_load_b64 v[1:2], v89, s[8:9] offset:2640
	v_add_co_u32 v5, vcc_lo, v5, s2
	s_wait_alu 0xfffd
	v_add_co_ci_u32_e32 v6, vcc_lo, s3, v6, vcc_lo
	s_wait_loadcnt 0x0
	v_mul_f32_e32 v7, v4, v2
	v_mul_f32_e32 v2, v3, v2
	s_delay_alu instid0(VALU_DEP_2) | instskip(NEXT) | instid1(VALU_DEP_2)
	v_fmac_f32_e32 v7, v3, v1
	v_fma_f32 v3, v1, v4, -v2
	s_delay_alu instid0(VALU_DEP_2) | instskip(NEXT) | instid1(VALU_DEP_2)
	v_cvt_f64_f32_e32 v[1:2], v7
	v_cvt_f64_f32_e32 v[3:4], v3
	s_delay_alu instid0(VALU_DEP_2) | instskip(NEXT) | instid1(VALU_DEP_2)
	v_mul_f64_e32 v[1:2], s[0:1], v[1:2]
	v_mul_f64_e32 v[3:4], s[0:1], v[3:4]
	s_delay_alu instid0(VALU_DEP_2) | instskip(NEXT) | instid1(VALU_DEP_2)
	v_cvt_f32_f64_e32 v1, v[1:2]
	v_cvt_f32_f64_e32 v2, v[3:4]
	global_store_b64 v[5:6], v[1:2], off
	global_load_b64 v[7:8], v89, s[8:9] offset:2904
	ds_load_2addr_b64 v[1:4], v0 offset0:107 offset1:140
	v_add_co_u32 v5, vcc_lo, v5, s2
	s_wait_alu 0xfffd
	v_add_co_ci_u32_e32 v6, vcc_lo, s3, v6, vcc_lo
	s_wait_loadcnt_dscnt 0x0
	v_mul_f32_e32 v9, v2, v8
	v_mul_f32_e32 v8, v1, v8
	s_delay_alu instid0(VALU_DEP_2) | instskip(NEXT) | instid1(VALU_DEP_2)
	v_fmac_f32_e32 v9, v1, v7
	v_fma_f32 v7, v7, v2, -v8
	s_delay_alu instid0(VALU_DEP_2) | instskip(NEXT) | instid1(VALU_DEP_2)
	v_cvt_f64_f32_e32 v[1:2], v9
	v_cvt_f64_f32_e32 v[7:8], v7
	s_delay_alu instid0(VALU_DEP_2) | instskip(NEXT) | instid1(VALU_DEP_2)
	v_mul_f64_e32 v[1:2], s[0:1], v[1:2]
	v_mul_f64_e32 v[7:8], s[0:1], v[7:8]
	s_delay_alu instid0(VALU_DEP_2) | instskip(NEXT) | instid1(VALU_DEP_2)
	v_cvt_f32_f64_e32 v1, v[1:2]
	v_cvt_f32_f64_e32 v2, v[7:8]
	global_store_b64 v[5:6], v[1:2], off
	global_load_b64 v[1:2], v89, s[8:9] offset:3168
	s_wait_loadcnt 0x0
	v_mul_f32_e32 v7, v4, v2
	v_mul_f32_e32 v2, v3, v2
	s_delay_alu instid0(VALU_DEP_2) | instskip(NEXT) | instid1(VALU_DEP_2)
	v_fmac_f32_e32 v7, v3, v1
	v_fma_f32 v3, v1, v4, -v2
	s_delay_alu instid0(VALU_DEP_2) | instskip(NEXT) | instid1(VALU_DEP_2)
	v_cvt_f64_f32_e32 v[1:2], v7
	v_cvt_f64_f32_e32 v[3:4], v3
	s_delay_alu instid0(VALU_DEP_2) | instskip(NEXT) | instid1(VALU_DEP_2)
	v_mul_f64_e32 v[1:2], s[0:1], v[1:2]
	v_mul_f64_e32 v[3:4], s[0:1], v[3:4]
	s_delay_alu instid0(VALU_DEP_2) | instskip(NEXT) | instid1(VALU_DEP_2)
	v_cvt_f32_f64_e32 v1, v[1:2]
	v_cvt_f32_f64_e32 v2, v[3:4]
	v_add_co_u32 v4, vcc_lo, v5, s2
	s_wait_alu 0xfffd
	v_add_co_ci_u32_e32 v5, vcc_lo, s3, v6, vcc_lo
	global_store_b64 v[4:5], v[1:2], off
	global_load_b64 v[6:7], v89, s[8:9] offset:3432
	ds_load_2addr_b64 v[0:3], v0 offset0:173 offset1:206
	v_add_co_u32 v4, vcc_lo, v4, s2
	s_wait_alu 0xfffd
	v_add_co_ci_u32_e32 v5, vcc_lo, s3, v5, vcc_lo
	s_wait_loadcnt_dscnt 0x0
	v_mul_f32_e32 v8, v1, v7
	v_mul_f32_e32 v7, v0, v7
	s_delay_alu instid0(VALU_DEP_2) | instskip(NEXT) | instid1(VALU_DEP_2)
	v_fmac_f32_e32 v8, v0, v6
	v_fma_f32 v6, v6, v1, -v7
	s_delay_alu instid0(VALU_DEP_2) | instskip(NEXT) | instid1(VALU_DEP_2)
	v_cvt_f64_f32_e32 v[0:1], v8
	v_cvt_f64_f32_e32 v[6:7], v6
	s_delay_alu instid0(VALU_DEP_2) | instskip(NEXT) | instid1(VALU_DEP_2)
	v_mul_f64_e32 v[0:1], s[0:1], v[0:1]
	v_mul_f64_e32 v[6:7], s[0:1], v[6:7]
	s_delay_alu instid0(VALU_DEP_2) | instskip(NEXT) | instid1(VALU_DEP_2)
	v_cvt_f32_f64_e32 v0, v[0:1]
	v_cvt_f32_f64_e32 v1, v[6:7]
	global_store_b64 v[4:5], v[0:1], off
	global_load_b64 v[0:1], v89, s[8:9] offset:3696
	v_add_co_u32 v4, vcc_lo, v4, s2
	s_wait_alu 0xfffd
	v_add_co_ci_u32_e32 v5, vcc_lo, s3, v5, vcc_lo
	s_wait_loadcnt 0x0
	v_mul_f32_e32 v6, v3, v1
	v_mul_f32_e32 v1, v2, v1
	s_delay_alu instid0(VALU_DEP_2) | instskip(NEXT) | instid1(VALU_DEP_2)
	v_fmac_f32_e32 v6, v2, v0
	v_fma_f32 v2, v0, v3, -v1
	s_delay_alu instid0(VALU_DEP_2) | instskip(NEXT) | instid1(VALU_DEP_2)
	v_cvt_f64_f32_e32 v[0:1], v6
	v_cvt_f64_f32_e32 v[2:3], v2
	s_delay_alu instid0(VALU_DEP_2) | instskip(NEXT) | instid1(VALU_DEP_2)
	v_mul_f64_e32 v[0:1], s[0:1], v[0:1]
	v_mul_f64_e32 v[2:3], s[0:1], v[2:3]
	s_delay_alu instid0(VALU_DEP_2) | instskip(NEXT) | instid1(VALU_DEP_2)
	v_cvt_f32_f64_e32 v0, v[0:1]
	v_cvt_f32_f64_e32 v1, v[2:3]
	global_store_b64 v[4:5], v[0:1], off
	global_load_b64 v[6:7], v89, s[8:9] offset:3960
	v_add_nc_u32_e32 v0, 0xc00, v93
	v_add_co_u32 v4, vcc_lo, v4, s2
	s_wait_alu 0xfffd
	v_add_co_ci_u32_e32 v5, vcc_lo, s3, v5, vcc_lo
	ds_load_2addr_b64 v[0:3], v0 offset0:111 offset1:144
	s_wait_loadcnt_dscnt 0x0
	v_mul_f32_e32 v8, v1, v7
	v_mul_f32_e32 v7, v0, v7
	s_delay_alu instid0(VALU_DEP_2) | instskip(NEXT) | instid1(VALU_DEP_2)
	v_fmac_f32_e32 v8, v0, v6
	v_fma_f32 v6, v6, v1, -v7
	s_delay_alu instid0(VALU_DEP_2) | instskip(NEXT) | instid1(VALU_DEP_2)
	v_cvt_f64_f32_e32 v[0:1], v8
	v_cvt_f64_f32_e32 v[6:7], v6
	s_delay_alu instid0(VALU_DEP_2) | instskip(NEXT) | instid1(VALU_DEP_2)
	v_mul_f64_e32 v[0:1], s[0:1], v[0:1]
	v_mul_f64_e32 v[6:7], s[0:1], v[6:7]
	s_delay_alu instid0(VALU_DEP_2) | instskip(NEXT) | instid1(VALU_DEP_2)
	v_cvt_f32_f64_e32 v0, v[0:1]
	v_cvt_f32_f64_e32 v1, v[6:7]
	global_store_b64 v[4:5], v[0:1], off
	global_load_b64 v[0:1], v89, s[8:9] offset:4224
	s_wait_loadcnt 0x0
	v_mul_f32_e32 v6, v3, v1
	v_mul_f32_e32 v1, v2, v1
	s_delay_alu instid0(VALU_DEP_2) | instskip(NEXT) | instid1(VALU_DEP_2)
	v_fmac_f32_e32 v6, v2, v0
	v_fma_f32 v2, v0, v3, -v1
	s_delay_alu instid0(VALU_DEP_2) | instskip(NEXT) | instid1(VALU_DEP_2)
	v_cvt_f64_f32_e32 v[0:1], v6
	v_cvt_f64_f32_e32 v[2:3], v2
	s_delay_alu instid0(VALU_DEP_2) | instskip(NEXT) | instid1(VALU_DEP_2)
	v_mul_f64_e32 v[0:1], s[0:1], v[0:1]
	v_mul_f64_e32 v[2:3], s[0:1], v[2:3]
	s_delay_alu instid0(VALU_DEP_2) | instskip(NEXT) | instid1(VALU_DEP_2)
	v_cvt_f32_f64_e32 v0, v[0:1]
	v_cvt_f32_f64_e32 v1, v[2:3]
	v_add_co_u32 v2, vcc_lo, v4, s2
	s_wait_alu 0xfffd
	v_add_co_ci_u32_e32 v3, vcc_lo, s3, v5, vcc_lo
	global_store_b64 v[2:3], v[0:1], off
.LBB0_23:
	s_nop 0
	s_sendmsg sendmsg(MSG_DEALLOC_VGPRS)
	s_endpgm
	.section	.rodata,"a",@progbits
	.p2align	6, 0x0
	.amdhsa_kernel bluestein_single_back_len561_dim1_sp_op_CI_CI
		.amdhsa_group_segment_fixed_size 22440
		.amdhsa_private_segment_fixed_size 0
		.amdhsa_kernarg_size 104
		.amdhsa_user_sgpr_count 2
		.amdhsa_user_sgpr_dispatch_ptr 0
		.amdhsa_user_sgpr_queue_ptr 0
		.amdhsa_user_sgpr_kernarg_segment_ptr 1
		.amdhsa_user_sgpr_dispatch_id 0
		.amdhsa_user_sgpr_private_segment_size 0
		.amdhsa_wavefront_size32 1
		.amdhsa_uses_dynamic_stack 0
		.amdhsa_enable_private_segment 0
		.amdhsa_system_sgpr_workgroup_id_x 1
		.amdhsa_system_sgpr_workgroup_id_y 0
		.amdhsa_system_sgpr_workgroup_id_z 0
		.amdhsa_system_sgpr_workgroup_info 0
		.amdhsa_system_vgpr_workitem_id 0
		.amdhsa_next_free_vgpr 215
		.amdhsa_next_free_sgpr 14
		.amdhsa_reserve_vcc 1
		.amdhsa_float_round_mode_32 0
		.amdhsa_float_round_mode_16_64 0
		.amdhsa_float_denorm_mode_32 3
		.amdhsa_float_denorm_mode_16_64 3
		.amdhsa_fp16_overflow 0
		.amdhsa_workgroup_processor_mode 1
		.amdhsa_memory_ordered 1
		.amdhsa_forward_progress 0
		.amdhsa_round_robin_scheduling 0
		.amdhsa_exception_fp_ieee_invalid_op 0
		.amdhsa_exception_fp_denorm_src 0
		.amdhsa_exception_fp_ieee_div_zero 0
		.amdhsa_exception_fp_ieee_overflow 0
		.amdhsa_exception_fp_ieee_underflow 0
		.amdhsa_exception_fp_ieee_inexact 0
		.amdhsa_exception_int_div_zero 0
	.end_amdhsa_kernel
	.text
.Lfunc_end0:
	.size	bluestein_single_back_len561_dim1_sp_op_CI_CI, .Lfunc_end0-bluestein_single_back_len561_dim1_sp_op_CI_CI
                                        ; -- End function
	.section	.AMDGPU.csdata,"",@progbits
; Kernel info:
; codeLenInByte = 22740
; NumSgprs: 16
; NumVgprs: 215
; ScratchSize: 0
; MemoryBound: 0
; FloatMode: 240
; IeeeMode: 1
; LDSByteSize: 22440 bytes/workgroup (compile time only)
; SGPRBlocks: 1
; VGPRBlocks: 26
; NumSGPRsForWavesPerEU: 16
; NumVGPRsForWavesPerEU: 215
; Occupancy: 7
; WaveLimiterHint : 1
; COMPUTE_PGM_RSRC2:SCRATCH_EN: 0
; COMPUTE_PGM_RSRC2:USER_SGPR: 2
; COMPUTE_PGM_RSRC2:TRAP_HANDLER: 0
; COMPUTE_PGM_RSRC2:TGID_X_EN: 1
; COMPUTE_PGM_RSRC2:TGID_Y_EN: 0
; COMPUTE_PGM_RSRC2:TGID_Z_EN: 0
; COMPUTE_PGM_RSRC2:TIDIG_COMP_CNT: 0
	.text
	.p2alignl 7, 3214868480
	.fill 96, 4, 3214868480
	.type	__hip_cuid_e8ab287b8bf3dc31,@object ; @__hip_cuid_e8ab287b8bf3dc31
	.section	.bss,"aw",@nobits
	.globl	__hip_cuid_e8ab287b8bf3dc31
__hip_cuid_e8ab287b8bf3dc31:
	.byte	0                               ; 0x0
	.size	__hip_cuid_e8ab287b8bf3dc31, 1

	.ident	"AMD clang version 19.0.0git (https://github.com/RadeonOpenCompute/llvm-project roc-6.4.0 25133 c7fe45cf4b819c5991fe208aaa96edf142730f1d)"
	.section	".note.GNU-stack","",@progbits
	.addrsig
	.addrsig_sym __hip_cuid_e8ab287b8bf3dc31
	.amdgpu_metadata
---
amdhsa.kernels:
  - .args:
      - .actual_access:  read_only
        .address_space:  global
        .offset:         0
        .size:           8
        .value_kind:     global_buffer
      - .actual_access:  read_only
        .address_space:  global
        .offset:         8
        .size:           8
        .value_kind:     global_buffer
      - .actual_access:  read_only
        .address_space:  global
        .offset:         16
        .size:           8
        .value_kind:     global_buffer
      - .actual_access:  read_only
        .address_space:  global
        .offset:         24
        .size:           8
        .value_kind:     global_buffer
      - .actual_access:  read_only
        .address_space:  global
        .offset:         32
        .size:           8
        .value_kind:     global_buffer
      - .offset:         40
        .size:           8
        .value_kind:     by_value
      - .address_space:  global
        .offset:         48
        .size:           8
        .value_kind:     global_buffer
      - .address_space:  global
        .offset:         56
        .size:           8
        .value_kind:     global_buffer
      - .address_space:  global
        .offset:         64
        .size:           8
        .value_kind:     global_buffer
      - .address_space:  global
        .offset:         72
        .size:           8
        .value_kind:     global_buffer
      - .offset:         80
        .size:           4
        .value_kind:     by_value
      - .address_space:  global
        .offset:         88
        .size:           8
        .value_kind:     global_buffer
      - .address_space:  global
        .offset:         96
        .size:           8
        .value_kind:     global_buffer
    .group_segment_fixed_size: 22440
    .kernarg_segment_align: 8
    .kernarg_segment_size: 104
    .language:       OpenCL C
    .language_version:
      - 2
      - 0
    .max_flat_workgroup_size: 255
    .name:           bluestein_single_back_len561_dim1_sp_op_CI_CI
    .private_segment_fixed_size: 0
    .sgpr_count:     16
    .sgpr_spill_count: 0
    .symbol:         bluestein_single_back_len561_dim1_sp_op_CI_CI.kd
    .uniform_work_group_size: 1
    .uses_dynamic_stack: false
    .vgpr_count:     215
    .vgpr_spill_count: 0
    .wavefront_size: 32
    .workgroup_processor_mode: 1
amdhsa.target:   amdgcn-amd-amdhsa--gfx1201
amdhsa.version:
  - 1
  - 2
...

	.end_amdgpu_metadata
